;; amdgpu-corpus repo=ROCm/rocFFT kind=compiled arch=gfx1100 opt=O3
	.text
	.amdgcn_target "amdgcn-amd-amdhsa--gfx1100"
	.amdhsa_code_object_version 6
	.protected	bluestein_single_back_len102_dim1_dp_op_CI_CI ; -- Begin function bluestein_single_back_len102_dim1_dp_op_CI_CI
	.globl	bluestein_single_back_len102_dim1_dp_op_CI_CI
	.p2align	8
	.type	bluestein_single_back_len102_dim1_dp_op_CI_CI,@function
bluestein_single_back_len102_dim1_dp_op_CI_CI: ; @bluestein_single_back_len102_dim1_dp_op_CI_CI
; %bb.0:
	s_load_b128 s[4:7], s[0:1], 0x28
	v_mul_u32_u24_e32 v1, 0xf10, v0
	s_mov_b32 s2, exec_lo
	s_delay_alu instid0(VALU_DEP_1) | instskip(NEXT) | instid1(VALU_DEP_1)
	v_lshrrev_b32_e32 v1, 16, v1
	v_mad_u64_u32 v[4:5], null, s15, 7, v[1:2]
	v_mov_b32_e32 v5, 0
	s_waitcnt lgkmcnt(0)
	s_delay_alu instid0(VALU_DEP_1)
	v_cmpx_gt_u64_e64 s[4:5], v[4:5]
	s_cbranch_execz .LBB0_15
; %bb.1:
	v_mul_hi_u32 v2, 0x24924925, v4
	v_mul_lo_u16 v1, v1, 17
	s_clause 0x1
	s_load_b64 s[4:5], s[0:1], 0x0
	s_load_b64 s[12:13], s[0:1], 0x38
	s_delay_alu instid0(VALU_DEP_1) | instskip(SKIP_1) | instid1(VALU_DEP_4)
	v_sub_nc_u16 v0, v0, v1
	v_mov_b32_e32 v1, v4
	v_sub_nc_u32_e32 v3, v4, v2
	s_delay_alu instid0(VALU_DEP_3) | instskip(SKIP_1) | instid1(VALU_DEP_3)
	v_and_b32_e32 v178, 0xffff, v0
	v_cmp_gt_u16_e32 vcc_lo, 6, v0
	v_lshrrev_b32_e32 v3, 1, v3
	s_delay_alu instid0(VALU_DEP_3) | instskip(SKIP_1) | instid1(VALU_DEP_3)
	v_or_b32_e32 v0, 24, v178
	v_or_b32_e32 v255, 0x60, v178
	v_add_nc_u32_e32 v2, v3, v2
	scratch_store_b32 off, v0, off offset:24 ; 4-byte Folded Spill
	v_or_b32_e32 v0, 48, v178
	v_lshrrev_b32_e32 v2, 2, v2
	scratch_store_b32 off, v0, off offset:20 ; 4-byte Folded Spill
	v_mul_lo_u32 v2, v2, 7
	v_or_b32_e32 v0, 0x48, v178
	s_clause 0x1
	scratch_store_b32 off, v0, off offset:16
	scratch_store_b64 off, v[1:2], off offset:8
	v_sub_nc_u32_e32 v1, v4, v2
	s_delay_alu instid0(VALU_DEP_1) | instskip(NEXT) | instid1(VALU_DEP_1)
	v_mul_u32_u24_e32 v112, 0x66, v1
	v_lshlrev_b32_e32 v0, 4, v112
	scratch_store_b32 off, v0, off offset:4 ; 4-byte Folded Spill
	s_and_saveexec_b32 s3, vcc_lo
	s_cbranch_execz .LBB0_3
; %bb.2:
	s_load_b64 s[8:9], s[0:1], 0x18
	v_or_b32_e32 v39, 24, v178
	v_or_b32_e32 v40, 48, v178
	;; [unrolled: 1-line block ×3, first 2 shown]
	s_waitcnt lgkmcnt(0)
	s_load_b128 s[8:11], s[8:9], 0x0
	s_waitcnt lgkmcnt(0)
	v_mad_u64_u32 v[76:77], null, s8, v255, 0
	v_lshlrev_b32_e32 v177, 4, v178
	v_mad_u64_u32 v[26:27], null, s8, v178, 0
	v_mad_u64_u32 v[28:29], null, s8, v39, 0
	;; [unrolled: 1-line block ×3, first 2 shown]
	v_mov_b32_e32 v34, v77
	s_clause 0x5
	global_load_b128 v[0:3], v177, s[4:5]
	global_load_b128 v[4:7], v177, s[4:5] offset:96
	global_load_b128 v[8:11], v177, s[4:5] offset:192
	;; [unrolled: 1-line block ×5, first 2 shown]
	scratch_load_b64 v[24:25], off, off offset:8 ; 8-byte Folded Reload
	v_mad_u64_u32 v[32:33], null, s8, v41, 0
	s_mul_i32 s2, s9, 0x60
	s_mul_hi_u32 s15, s8, 0x60
	s_mul_i32 s16, s9, 0xc0
	s_add_i32 s15, s15, s2
	s_mul_hi_u32 s17, s8, 0xc0
	s_mul_i32 s14, s8, 0xc0
	s_add_i32 s17, s17, s16
	s_waitcnt vmcnt(0)
	v_mov_b32_e32 v37, v24
	s_delay_alu instid0(VALU_DEP_1) | instskip(SKIP_1) | instid1(VALU_DEP_1)
	v_mad_u64_u32 v[24:25], null, s10, v37, 0
	s_mul_i32 s10, s8, 0x60
	v_mad_u64_u32 v[35:36], null, s11, v37, v[25:26]
	v_mad_u64_u32 v[36:37], null, s9, v178, v[27:28]
	;; [unrolled: 1-line block ×4, first 2 shown]
	s_delay_alu instid0(VALU_DEP_4) | instskip(SKIP_3) | instid1(VALU_DEP_4)
	v_mov_b32_e32 v25, v35
	v_mad_u64_u32 v[39:40], null, s9, v41, v[33:34]
	v_mov_b32_e32 v27, v36
	v_mov_b32_e32 v29, v37
	v_lshlrev_b64 v[24:25], 4, v[24:25]
	v_mov_b32_e32 v31, v38
	v_mad_u64_u32 v[77:78], null, s9, v255, v[34:35]
	v_lshlrev_b64 v[26:27], 4, v[26:27]
	v_mov_b32_e32 v33, v39
	v_add_co_u32 v96, s2, s6, v24
	v_lshlrev_b64 v[28:29], 4, v[28:29]
	v_add_co_ci_u32_e64 v97, s2, s7, v25, s2
	v_lshlrev_b64 v[30:31], 4, v[30:31]
	v_lshlrev_b64 v[24:25], 4, v[32:33]
	v_add_co_u32 v32, s2, v96, v26
	s_delay_alu instid0(VALU_DEP_1) | instskip(SKIP_1) | instid1(VALU_DEP_1)
	v_add_co_ci_u32_e64 v33, s2, v97, v27, s2
	v_add_co_u32 v48, s2, v96, v28
	v_add_co_ci_u32_e64 v49, s2, v97, v29, s2
	v_add_co_u32 v26, s2, v96, v30
	s_delay_alu instid0(VALU_DEP_1) | instskip(SKIP_1) | instid1(VALU_DEP_1)
	v_add_co_ci_u32_e64 v27, s2, v97, v31, s2
	v_add_co_u32 v36, s2, v32, s10
	v_add_co_ci_u32_e64 v37, s2, s15, v33, s2
	v_add_co_u32 v28, s2, v96, v24
	s_delay_alu instid0(VALU_DEP_1) | instskip(NEXT) | instid1(VALU_DEP_4)
	v_add_co_ci_u32_e64 v29, s2, v97, v25, s2
	v_add_co_u32 v40, s2, v36, s10
	s_delay_alu instid0(VALU_DEP_1) | instskip(SKIP_1) | instid1(VALU_DEP_3)
	v_add_co_ci_u32_e64 v41, s2, s15, v37, s2
	v_lshlrev_b64 v[94:95], 4, v[76:77]
	v_add_co_u32 v44, s2, v40, s10
	s_delay_alu instid0(VALU_DEP_1) | instskip(SKIP_4) | instid1(VALU_DEP_1)
	v_add_co_ci_u32_e64 v45, s2, s15, v41, s2
	s_clause 0x1
	global_load_b128 v[24:27], v[26:27], off
	global_load_b128 v[28:31], v[28:29], off
	v_add_co_u32 v52, s2, v44, s14
	v_add_co_ci_u32_e64 v53, s2, s17, v45, s2
	s_clause 0x1
	global_load_b128 v[32:35], v[32:33], off
	global_load_b128 v[36:39], v[36:37], off
	v_add_co_u32 v60, s2, v52, s10
	s_delay_alu instid0(VALU_DEP_1)
	v_add_co_ci_u32_e64 v61, s2, s15, v53, s2
	s_clause 0x3
	global_load_b128 v[40:43], v[40:41], off
	global_load_b128 v[44:47], v[44:45], off
	;; [unrolled: 1-line block ×5, first 2 shown]
	v_add_co_u32 v78, s2, v60, s10
	s_delay_alu instid0(VALU_DEP_1)
	v_add_co_ci_u32_e64 v79, s2, s15, v61, s2
	s_clause 0x3
	global_load_b128 v[60:63], v177, s[4:5] offset:576
	global_load_b128 v[64:67], v177, s[4:5] offset:672
	global_load_b128 v[68:71], v177, s[4:5] offset:768
	global_load_b128 v[72:75], v177, s[4:5] offset:864
	v_add_co_u32 v92, s2, v78, s14
	s_delay_alu instid0(VALU_DEP_1) | instskip(SKIP_1) | instid1(VALU_DEP_1)
	v_add_co_ci_u32_e64 v93, s2, s17, v79, s2
	v_add_co_u32 v96, s2, v96, v94
	v_add_co_ci_u32_e64 v97, s2, v97, v95, s2
	s_delay_alu instid0(VALU_DEP_4) | instskip(NEXT) | instid1(VALU_DEP_1)
	v_add_co_u32 v100, s2, v92, s10
	v_add_co_ci_u32_e64 v101, s2, s15, v93, s2
	global_load_b128 v[76:79], v[78:79], off
	s_clause 0x1
	global_load_b128 v[80:83], v177, s[4:5] offset:1152
	global_load_b128 v[84:87], v177, s[4:5] offset:1248
	global_load_b128 v[88:91], v[92:93], off
	v_add_co_u32 v113, s2, v100, s10
	s_delay_alu instid0(VALU_DEP_1) | instskip(SKIP_3) | instid1(VALU_DEP_1)
	v_add_co_ci_u32_e64 v114, s2, s15, v101, s2
	global_load_b128 v[92:95], v177, s[4:5] offset:1536
	global_load_b128 v[96:99], v[96:97], off
	v_add_co_u32 v117, s2, v113, s14
	v_add_co_ci_u32_e64 v118, s2, s17, v114, s2
	global_load_b128 v[100:103], v[100:101], off
	v_add_co_u32 v121, s2, v117, s10
	s_delay_alu instid0(VALU_DEP_1)
	v_add_co_ci_u32_e64 v122, s2, s15, v118, s2
	s_clause 0x1
	global_load_b128 v[104:107], v177, s[4:5] offset:960
	global_load_b128 v[108:111], v177, s[4:5] offset:1056
	global_load_b128 v[113:116], v[113:114], off
	v_add_co_u32 v133, s2, v121, s10
	s_delay_alu instid0(VALU_DEP_1)
	v_add_co_ci_u32_e64 v134, s2, s15, v122, s2
	global_load_b128 v[117:120], v[117:118], off
	global_load_b128 v[121:124], v[121:122], off
	s_clause 0x1
	global_load_b128 v[125:128], v177, s[4:5] offset:1344
	global_load_b128 v[129:132], v177, s[4:5] offset:1440
	global_load_b128 v[133:136], v[133:134], off
	s_waitcnt vmcnt(25)
	v_mul_f64 v[137:138], v[34:35], v[2:3]
	v_mul_f64 v[2:3], v[32:33], v[2:3]
	s_waitcnt vmcnt(24)
	v_mul_f64 v[147:148], v[38:39], v[6:7]
	v_mul_f64 v[149:150], v[36:37], v[6:7]
	;; [unrolled: 3-line block ×3, first 2 shown]
	v_mul_f64 v[151:152], v[42:43], v[10:11]
	v_mul_f64 v[10:11], v[40:41], v[10:11]
	;; [unrolled: 1-line block ×4, first 2 shown]
	s_waitcnt vmcnt(16)
	v_mul_f64 v[141:142], v[26:27], v[70:71]
	v_mul_f64 v[70:71], v[24:25], v[70:71]
	;; [unrolled: 1-line block ×6, first 2 shown]
	s_waitcnt vmcnt(14)
	v_mul_f64 v[163:164], v[78:79], v[66:67]
	s_waitcnt vmcnt(13)
	v_mul_f64 v[143:144], v[30:31], v[82:83]
	v_mul_f64 v[66:67], v[76:77], v[66:67]
	s_waitcnt vmcnt(11)
	v_mul_f64 v[165:166], v[90:91], v[74:75]
	v_mul_f64 v[74:75], v[88:89], v[74:75]
	;; [unrolled: 1-line block ×3, first 2 shown]
	s_waitcnt vmcnt(9)
	v_mul_f64 v[145:146], v[98:99], v[94:95]
	v_mul_f64 v[94:95], v[96:97], v[94:95]
	s_waitcnt vmcnt(7)
	v_mul_f64 v[167:168], v[102:103], v[106:107]
	v_mul_f64 v[106:107], v[100:101], v[106:107]
	;; [unrolled: 3-line block ×6, first 2 shown]
	v_fma_f64 v[32:33], v[32:33], v[0:1], v[137:138]
	v_fma_f64 v[34:35], v[34:35], v[0:1], -v[2:3]
	v_fma_f64 v[0:1], v[48:49], v[16:17], v[139:140]
	v_fma_f64 v[2:3], v[50:51], v[16:17], -v[18:19]
	v_fma_f64 v[16:17], v[26:27], v[68:69], -v[70:71]
	v_fma_f64 v[26:27], v[36:37], v[4:5], v[147:148]
	v_fma_f64 v[36:37], v[40:41], v[8:9], v[151:152]
	v_fma_f64 v[18:19], v[52:53], v[20:21], v[157:158]
	v_fma_f64 v[20:21], v[54:55], v[20:21], -v[159:160]
	v_fma_f64 v[40:41], v[56:57], v[60:61], v[161:162]
	v_fma_f64 v[14:15], v[24:25], v[68:69], v[141:142]
	;; [unrolled: 1-line block ×3, first 2 shown]
	v_fma_f64 v[28:29], v[38:39], v[4:5], -v[149:150]
	v_fma_f64 v[38:39], v[42:43], v[8:9], -v[10:11]
	v_fma_f64 v[10:11], v[44:45], v[12:13], v[153:154]
	v_fma_f64 v[12:13], v[46:47], v[12:13], -v[155:156]
	v_fma_f64 v[42:43], v[58:59], v[60:61], -v[62:63]
	v_fma_f64 v[44:45], v[76:77], v[64:65], v[163:164]
	v_fma_f64 v[46:47], v[78:79], v[64:65], -v[66:67]
	v_fma_f64 v[48:49], v[88:89], v[72:73], v[165:166]
	v_fma_f64 v[50:51], v[90:91], v[72:73], -v[74:75]
	v_fma_f64 v[24:25], v[30:31], v[80:81], -v[82:83]
	v_fma_f64 v[6:7], v[96:97], v[92:93], v[145:146]
	v_fma_f64 v[8:9], v[98:99], v[92:93], -v[94:95]
	v_lshlrev_b32_e32 v5, 4, v112
	v_fma_f64 v[52:53], v[100:101], v[104:105], v[167:168]
	v_fma_f64 v[54:55], v[102:103], v[104:105], -v[106:107]
	v_fma_f64 v[56:57], v[113:114], v[108:109], v[169:170]
	v_fma_f64 v[58:59], v[115:116], v[108:109], -v[110:111]
	;; [unrolled: 2-line block ×5, first 2 shown]
	v_lshl_add_u32 v4, v178, 4, v5
	v_add_nc_u32_e32 v5, v5, v177
	ds_store_b128 v4, v[32:35]
	ds_store_b128 v5, v[26:29] offset:96
	ds_store_b128 v5, v[36:39] offset:192
	;; [unrolled: 1-line block ×16, first 2 shown]
.LBB0_3:
	s_or_b32 exec_lo, exec_lo, s3
	s_load_b64 s[2:3], s[0:1], 0x20
	s_waitcnt lgkmcnt(0)
	s_waitcnt_vscnt null, 0x0
	s_barrier
	buffer_gl0_inv
                                        ; implicit-def: $vgpr94_vgpr95
                                        ; implicit-def: $vgpr90_vgpr91
                                        ; implicit-def: $vgpr86_vgpr87
                                        ; implicit-def: $vgpr82_vgpr83
                                        ; implicit-def: $vgpr78_vgpr79
                                        ; implicit-def: $vgpr74_vgpr75
                                        ; implicit-def: $vgpr30_vgpr31
                                        ; implicit-def: $vgpr96_vgpr97
                                        ; implicit-def: $vgpr104_vgpr105
                                        ; implicit-def: $vgpr108_vgpr109
                                        ; implicit-def: $vgpr100_vgpr101
                                        ; implicit-def: $vgpr68_vgpr69
                                        ; implicit-def: $vgpr64_vgpr65
                                        ; implicit-def: $vgpr44_vgpr45
                                        ; implicit-def: $vgpr40_vgpr41
                                        ; implicit-def: $vgpr32_vgpr33
                                        ; implicit-def: $vgpr36_vgpr37
	s_and_saveexec_b32 s6, vcc_lo
	s_cbranch_execz .LBB0_5
; %bb.4:
	v_lshlrev_b32_e32 v0, 4, v178
	s_delay_alu instid0(VALU_DEP_1)
	v_lshl_add_u32 v0, v112, 4, v0
	ds_load_b128 v[28:31], v0
	ds_load_b128 v[72:75], v0 offset:96
	ds_load_b128 v[76:79], v0 offset:192
	;; [unrolled: 1-line block ×16, first 2 shown]
.LBB0_5:
	s_or_b32 exec_lo, exec_lo, s6
	s_waitcnt lgkmcnt(0)
	v_add_f64 v[56:57], v[74:75], -v[38:39]
	v_add_f64 v[58:59], v[78:79], -v[34:35]
	s_mov_b32 s24, 0x5d8e7cdc
	s_mov_b32 s26, 0x2a9d6da3
	;; [unrolled: 1-line block ×4, first 2 shown]
	v_add_f64 v[143:144], v[72:73], v[36:37]
	v_add_f64 v[62:63], v[76:77], -v[32:33]
	s_mov_b32 s6, 0x370991
	s_mov_b32 s7, 0x3fedd6d0
	v_add_f64 v[115:116], v[76:77], v[32:33]
	s_mov_b32 s8, 0x75d4884
	s_mov_b32 s9, 0x3fe7a5f6
	v_add_f64 v[60:61], v[72:73], -v[36:37]
	v_add_f64 v[151:152], v[74:75], v[38:39]
	v_add_f64 v[119:120], v[78:79], v[34:35]
	v_add_f64 v[195:196], v[82:83], -v[42:43]
	s_mov_b32 s36, 0x7c9e640b
	s_mov_b32 s37, 0xbfeca52d
	v_add_f64 v[123:124], v[80:81], v[40:41]
	s_mov_b32 s10, 0x2b2883cd
	s_mov_b32 s34, 0xeb564b22
	;; [unrolled: 1-line block ×4, first 2 shown]
	v_add_f64 v[197:198], v[80:81], -v[40:41]
	v_add_f64 v[131:132], v[82:83], v[42:43]
	s_mov_b32 s30, 0x6c9a05f6
	s_mov_b32 s31, 0xbfe9895b
	v_add_f64 v[199:200], v[86:87], -v[46:47]
	v_add_f64 v[127:128], v[84:85], v[44:45]
	s_mov_b32 s14, 0x3259b75e
	s_mov_b32 s15, 0x3fb79ee6
	v_add_f64 v[201:202], v[84:85], -v[44:45]
	v_add_f64 v[135:136], v[86:87], v[46:47]
	v_add_f64 v[203:204], v[90:91], -v[66:67]
	s_mov_b32 s28, 0x923c349f
	s_mov_b32 s29, 0xbfeec746
	v_add_f64 v[139:140], v[88:89], v[64:65]
	v_mul_f64 v[0:1], v[56:57], s[24:25]
	v_mul_f64 v[2:3], v[58:59], s[26:27]
	v_mul_f64 v[6:7], v[58:59], s[34:35]
	v_mul_f64 v[10:11], v[58:59], s[30:31]
	s_mov_b32 s16, 0xc61f0d01
	s_mov_b32 s40, 0xacd6c6b4
	;; [unrolled: 1-line block ×3, first 2 shown]
	v_mul_f64 v[4:5], v[62:63], s[26:27]
	v_mul_f64 v[8:9], v[62:63], s[34:35]
	;; [unrolled: 1-line block ×3, first 2 shown]
	s_mov_b32 s41, 0xbfc7851a
	v_add_f64 v[205:206], v[88:89], -v[64:65]
	v_mul_f64 v[14:15], v[58:59], s[40:41]
	v_add_f64 v[147:148], v[90:91], v[66:67]
	v_add_f64 v[207:208], v[94:95], -v[70:71]
	v_mul_f64 v[16:17], v[62:63], s[40:41]
	v_add_f64 v[155:156], v[92:93], v[68:69]
	s_mov_b32 s18, 0x6ed5f1bb
	s_mov_b32 s19, 0xbfe348c8
	v_add_f64 v[209:210], v[92:93], -v[68:69]
	v_add_f64 v[159:160], v[94:95], v[70:71]
	v_add_f64 v[211:212], v[98:99], -v[102:103]
	s_mov_b32 s38, 0x4363dd80
	s_mov_b32 s39, 0xbfe0d888
	v_add_f64 v[163:164], v[96:97], v[100:101]
	s_mov_b32 s20, 0x910ea3b9
	s_mov_b32 s21, 0xbfeb34fa
	v_add_f64 v[213:214], v[96:97], -v[100:101]
	v_add_f64 v[167:168], v[98:99], v[102:103]
	v_add_f64 v[215:216], v[106:107], -v[110:111]
	v_add_f64 v[171:172], v[104:105], v[108:109]
	s_mov_b32 s22, 0x7faef3
	s_mov_b32 s23, 0xbfef7484
	v_add_f64 v[217:218], v[104:105], -v[108:109]
	v_add_f64 v[175:176], v[106:107], v[110:111]
	s_mov_b32 s53, 0x3fe0d888
	s_mov_b32 s52, s38
	;; [unrolled: 1-line block ×4, first 2 shown]
	s_clause 0x1
	scratch_store_b64 off, v[2:3], off offset:28
	scratch_store_b64 off, v[0:1], off offset:108
	v_fma_f64 v[0:1], v[143:144], s[6:7], v[0:1]
	v_fma_f64 v[2:3], v[115:116], s[8:9], v[2:3]
	s_mov_b32 s43, 0x3feca52d
	s_mov_b32 s42, s36
	scratch_store_b64 off, v[4:5], off offset:44 ; 8-byte Folded Spill
	v_fma_f64 v[4:5], v[119:120], s[8:9], -v[4:5]
	s_mov_b32 s45, 0x3fd71e95
	s_mov_b32 s44, s24
	v_mul_f64 v[129:130], v[60:61], s[36:37]
	s_mov_b32 s47, 0x3fc7851a
	s_mov_b32 s46, s40
	v_mul_f64 v[141:142], v[56:57], s[34:35]
	v_mul_f64 v[145:146], v[60:61], s[34:35]
	;; [unrolled: 1-line block ×8, first 2 shown]
	s_mov_b32 s51, 0x3fe9895b
	s_mov_b32 s50, s30
	v_mul_f64 v[191:192], v[56:57], s[28:29]
	v_mul_f64 v[253:254], v[211:212], s[50:51]
	;; [unrolled: 1-line block ×10, first 2 shown]
	scratch_store_b32 off, v178, off        ; 4-byte Folded Spill
	v_mul_f64 v[173:174], v[211:212], s[24:25]
	v_mul_f64 v[187:188], v[213:214], s[24:25]
	;; [unrolled: 1-line block ×6, first 2 shown]
	v_add_f64 v[0:1], v[28:29], v[0:1]
	v_mul_f64 v[48:49], v[60:61], s[30:31]
	v_mul_f64 v[50:51], v[62:63], s[48:49]
	s_load_b64 s[0:1], s[0:1], 0x8
	scratch_store_b64 off, v[16:17], off offset:428 ; 8-byte Folded Spill
	v_fma_f64 v[16:17], v[119:120], s[22:23], -v[16:17]
	scratch_store_b64 off, v[6:7], off offset:180 ; 8-byte Folded Spill
	v_fma_f64 v[6:7], v[115:116], s[14:15], v[6:7]
	scratch_store_b64 off, v[8:9], off offset:188 ; 8-byte Folded Spill
	v_fma_f64 v[8:9], v[119:120], s[14:15], -v[8:9]
	scratch_store_b64 off, v[10:11], off offset:212 ; 8-byte Folded Spill
	v_fma_f64 v[10:11], v[115:116], s[18:19], v[10:11]
	;; [unrolled: 4-line block ×3, first 2 shown]
	v_fma_f64 v[18:19], v[115:116], s[20:21], v[149:150]
	v_fma_f64 v[20:21], v[119:120], s[20:21], -v[153:154]
	v_fma_f64 v[22:23], v[115:116], s[16:17], -v[26:27]
	v_add_f64 v[0:1], v[2:3], v[0:1]
	v_mul_f64 v[2:3], v[60:61], s[24:25]
	v_fma_f64 v[52:53], v[119:120], s[16:17], v[50:51]
	v_fma_f64 v[26:27], v[115:116], s[16:17], v[26:27]
	scratch_store_b64 off, v[2:3], off offset:124 ; 8-byte Folded Spill
	v_fma_f64 v[2:3], v[151:152], s[6:7], -v[2:3]
	s_delay_alu instid0(VALU_DEP_1) | instskip(NEXT) | instid1(VALU_DEP_1)
	v_add_f64 v[2:3], v[30:31], v[2:3]
	v_add_f64 v[2:3], v[4:5], v[2:3]
	v_mul_f64 v[4:5], v[195:196], s[36:37]
	scratch_store_b64 off, v[4:5], off offset:60 ; 8-byte Folded Spill
	v_fma_f64 v[4:5], v[123:124], s[10:11], v[4:5]
	s_delay_alu instid0(VALU_DEP_1) | instskip(SKIP_3) | instid1(VALU_DEP_1)
	v_add_f64 v[0:1], v[4:5], v[0:1]
	v_mul_f64 v[4:5], v[197:198], s[36:37]
	scratch_store_b64 off, v[4:5], off offset:84 ; 8-byte Folded Spill
	v_fma_f64 v[4:5], v[131:132], s[10:11], -v[4:5]
	v_add_f64 v[2:3], v[4:5], v[2:3]
	v_mul_f64 v[4:5], v[199:200], s[34:35]
	scratch_store_b64 off, v[4:5], off offset:76 ; 8-byte Folded Spill
	v_fma_f64 v[4:5], v[127:128], s[14:15], v[4:5]
	s_delay_alu instid0(VALU_DEP_1) | instskip(SKIP_3) | instid1(VALU_DEP_1)
	v_add_f64 v[0:1], v[4:5], v[0:1]
	v_mul_f64 v[4:5], v[201:202], s[34:35]
	scratch_store_b64 off, v[4:5], off offset:92 ; 8-byte Folded Spill
	v_fma_f64 v[4:5], v[135:136], s[14:15], -v[4:5]
	;; [unrolled: 9-line block ×6, first 2 shown]
	v_add_f64 v[2:3], v[4:5], v[2:3]
	v_mul_f64 v[4:5], v[56:57], s[26:27]
	scratch_store_b64 off, v[4:5], off offset:404 ; 8-byte Folded Spill
	v_fma_f64 v[4:5], v[143:144], s[8:9], v[4:5]
	s_delay_alu instid0(VALU_DEP_1) | instskip(NEXT) | instid1(VALU_DEP_1)
	v_add_f64 v[4:5], v[28:29], v[4:5]
	v_add_f64 v[4:5], v[6:7], v[4:5]
	v_mul_f64 v[6:7], v[60:61], s[26:27]
	scratch_store_b64 off, v[6:7], off offset:412 ; 8-byte Folded Spill
	v_fma_f64 v[6:7], v[151:152], s[8:9], -v[6:7]
	s_delay_alu instid0(VALU_DEP_1) | instskip(NEXT) | instid1(VALU_DEP_1)
	v_add_f64 v[6:7], v[30:31], v[6:7]
	v_add_f64 v[6:7], v[8:9], v[6:7]
	v_mul_f64 v[8:9], v[195:196], s[30:31]
	scratch_store_b64 off, v[8:9], off offset:196 ; 8-byte Folded Spill
	v_fma_f64 v[8:9], v[123:124], s[18:19], v[8:9]
	s_delay_alu instid0(VALU_DEP_1) | instskip(SKIP_3) | instid1(VALU_DEP_1)
	v_add_f64 v[4:5], v[8:9], v[4:5]
	v_mul_f64 v[8:9], v[197:198], s[30:31]
	scratch_store_b64 off, v[8:9], off offset:260 ; 8-byte Folded Spill
	v_fma_f64 v[8:9], v[131:132], s[18:19], -v[8:9]
	v_add_f64 v[6:7], v[8:9], v[6:7]
	v_mul_f64 v[8:9], v[199:200], s[40:41]
	scratch_store_b64 off, v[8:9], off offset:204 ; 8-byte Folded Spill
	v_fma_f64 v[8:9], v[127:128], s[22:23], v[8:9]
	s_delay_alu instid0(VALU_DEP_1) | instskip(SKIP_3) | instid1(VALU_DEP_1)
	v_add_f64 v[4:5], v[8:9], v[4:5]
	v_mul_f64 v[8:9], v[201:202], s[40:41]
	scratch_store_b64 off, v[8:9], off offset:228 ; 8-byte Folded Spill
	v_fma_f64 v[8:9], v[135:136], s[22:23], -v[8:9]
	;; [unrolled: 9-line block ×6, first 2 shown]
	v_add_f64 v[6:7], v[8:9], v[6:7]
	v_mul_f64 v[8:9], v[56:57], s[36:37]
	s_mov_b32 s37, 0x3fefdd0d
	s_mov_b32 s36, s34
	s_delay_alu instid0(SALU_CYCLE_1) | instskip(SKIP_3) | instid1(VALU_DEP_1)
	v_mul_f64 v[177:178], v[207:208], s[36:37]
	v_mul_f64 v[189:190], v[209:210], s[36:37]
	scratch_store_b64 off, v[8:9], off offset:460 ; 8-byte Folded Spill
	v_fma_f64 v[8:9], v[143:144], s[10:11], v[8:9]
	v_add_f64 v[8:9], v[28:29], v[8:9]
	s_delay_alu instid0(VALU_DEP_1) | instskip(SKIP_1) | instid1(VALU_DEP_1)
	v_add_f64 v[8:9], v[10:11], v[8:9]
	v_fma_f64 v[10:11], v[151:152], s[10:11], -v[129:130]
	v_add_f64 v[10:11], v[30:31], v[10:11]
	s_delay_alu instid0(VALU_DEP_1) | instskip(SKIP_3) | instid1(VALU_DEP_1)
	v_add_f64 v[10:11], v[12:13], v[10:11]
	v_mul_f64 v[12:13], v[195:196], s[46:47]
	scratch_store_b64 off, v[12:13], off offset:308 ; 8-byte Folded Spill
	v_fma_f64 v[12:13], v[123:124], s[22:23], v[12:13]
	v_add_f64 v[8:9], v[12:13], v[8:9]
	v_mul_f64 v[12:13], v[197:198], s[46:47]
	s_mov_b32 s47, 0x3fe58eea
	s_mov_b32 s46, s26
	s_delay_alu instid0(SALU_CYCLE_1) | instskip(SKIP_4) | instid1(VALU_DEP_1)
	v_mul_f64 v[125:126], v[217:218], s[46:47]
	v_mul_f64 v[157:158], v[195:196], s[46:47]
	;; [unrolled: 1-line block ×3, first 2 shown]
	scratch_store_b64 off, v[12:13], off offset:364 ; 8-byte Folded Spill
	v_fma_f64 v[12:13], v[131:132], s[22:23], -v[12:13]
	v_add_f64 v[10:11], v[12:13], v[10:11]
	v_mul_f64 v[12:13], v[199:200], s[48:49]
	scratch_store_b64 off, v[12:13], off offset:316 ; 8-byte Folded Spill
	v_fma_f64 v[12:13], v[127:128], s[16:17], v[12:13]
	s_delay_alu instid0(VALU_DEP_1) | instskip(SKIP_3) | instid1(VALU_DEP_1)
	v_add_f64 v[8:9], v[12:13], v[8:9]
	v_mul_f64 v[12:13], v[201:202], s[48:49]
	scratch_store_b64 off, v[12:13], off offset:356 ; 8-byte Folded Spill
	v_fma_f64 v[12:13], v[135:136], s[16:17], -v[12:13]
	v_add_f64 v[10:11], v[12:13], v[10:11]
	v_mul_f64 v[12:13], v[203:204], s[46:47]
	scratch_store_b64 off, v[12:13], off offset:340 ; 8-byte Folded Spill
	v_fma_f64 v[12:13], v[139:140], s[8:9], v[12:13]
	s_delay_alu instid0(VALU_DEP_1) | instskip(SKIP_3) | instid1(VALU_DEP_1)
	v_add_f64 v[8:9], v[12:13], v[8:9]
	v_mul_f64 v[12:13], v[205:206], s[46:47]
	;; [unrolled: 9-line block ×5, first 2 shown]
	scratch_store_b64 off, v[12:13], off offset:372 ; 8-byte Folded Spill
	v_fma_f64 v[12:13], v[175:176], s[20:21], -v[12:13]
	v_add_f64 v[10:11], v[12:13], v[10:11]
	v_fma_f64 v[12:13], v[143:144], s[14:15], v[141:142]
	s_delay_alu instid0(VALU_DEP_1) | instskip(NEXT) | instid1(VALU_DEP_1)
	v_add_f64 v[12:13], v[28:29], v[12:13]
	v_add_f64 v[12:13], v[14:15], v[12:13]
	v_fma_f64 v[14:15], v[151:152], s[14:15], -v[145:146]
	s_delay_alu instid0(VALU_DEP_1) | instskip(NEXT) | instid1(VALU_DEP_1)
	v_add_f64 v[14:15], v[30:31], v[14:15]
	v_add_f64 v[14:15], v[16:17], v[14:15]
	v_mul_f64 v[16:17], v[195:196], s[48:49]
	scratch_store_b64 off, v[16:17], off offset:436 ; 8-byte Folded Spill
	v_fma_f64 v[16:17], v[123:124], s[16:17], v[16:17]
	s_delay_alu instid0(VALU_DEP_1) | instskip(SKIP_1) | instid1(VALU_DEP_1)
	v_add_f64 v[12:13], v[16:17], v[12:13]
	v_fma_f64 v[16:17], v[131:132], s[16:17], -v[117:118]
	v_add_f64 v[14:15], v[16:17], v[14:15]
	v_mul_f64 v[16:17], v[199:200], s[44:45]
	scratch_store_b64 off, v[16:17], off offset:444 ; 8-byte Folded Spill
	v_fma_f64 v[16:17], v[127:128], s[6:7], v[16:17]
	s_delay_alu instid0(VALU_DEP_1) | instskip(SKIP_1) | instid1(VALU_DEP_1)
	v_add_f64 v[12:13], v[16:17], v[12:13]
	v_fma_f64 v[16:17], v[135:136], s[6:7], -v[113:114]
	v_add_f64 v[14:15], v[16:17], v[14:15]
	v_fma_f64 v[16:17], v[139:140], s[10:11], v[249:250]
	s_delay_alu instid0(VALU_DEP_1) | instskip(SKIP_1) | instid1(VALU_DEP_1)
	v_add_f64 v[12:13], v[16:17], v[12:13]
	v_fma_f64 v[16:17], v[147:148], s[10:11], -v[121:122]
	v_add_f64 v[14:15], v[16:17], v[14:15]
	;; [unrolled: 5-line block ×4, first 2 shown]
	v_mul_f64 v[16:17], v[215:216], s[46:47]
	scratch_store_b64 off, v[16:17], off offset:452 ; 8-byte Folded Spill
	v_fma_f64 v[16:17], v[171:172], s[8:9], v[16:17]
	s_delay_alu instid0(VALU_DEP_1) | instskip(SKIP_1) | instid1(VALU_DEP_1)
	v_add_f64 v[12:13], v[16:17], v[12:13]
	v_fma_f64 v[16:17], v[175:176], s[8:9], -v[125:126]
	v_add_f64 v[14:15], v[16:17], v[14:15]
	v_fma_f64 v[16:17], v[143:144], s[16:17], v[191:192]
	s_delay_alu instid0(VALU_DEP_1) | instskip(NEXT) | instid1(VALU_DEP_1)
	v_add_f64 v[16:17], v[28:29], v[16:17]
	v_add_f64 v[16:17], v[18:19], v[16:17]
	v_fma_f64 v[18:19], v[151:152], s[16:17], -v[193:194]
	s_delay_alu instid0(VALU_DEP_1) | instskip(NEXT) | instid1(VALU_DEP_1)
	v_add_f64 v[18:19], v[30:31], v[18:19]
	v_add_f64 v[18:19], v[20:21], v[18:19]
	v_fma_f64 v[20:21], v[123:124], s[8:9], v[157:158]
	s_delay_alu instid0(VALU_DEP_1) | instskip(SKIP_1) | instid1(VALU_DEP_1)
	v_add_f64 v[16:17], v[20:21], v[16:17]
	v_fma_f64 v[20:21], v[131:132], s[8:9], -v[181:182]
	v_add_f64 v[18:19], v[20:21], v[18:19]
	v_fma_f64 v[20:21], v[127:128], s[10:11], v[161:162]
	s_delay_alu instid0(VALU_DEP_1) | instskip(SKIP_1) | instid1(VALU_DEP_1)
	v_add_f64 v[16:17], v[20:21], v[16:17]
	v_fma_f64 v[20:21], v[135:136], s[10:11], -v[179:180]
	;; [unrolled: 5-line block ×6, first 2 shown]
	v_add_f64 v[18:19], v[20:21], v[18:19]
	v_fma_f64 v[20:21], v[143:144], s[18:19], -v[24:25]
	v_fma_f64 v[24:25], v[143:144], s[18:19], v[24:25]
	s_delay_alu instid0(VALU_DEP_2) | instskip(NEXT) | instid1(VALU_DEP_2)
	v_add_f64 v[20:21], v[28:29], v[20:21]
	v_add_f64 v[24:25], v[28:29], v[24:25]
	s_delay_alu instid0(VALU_DEP_2) | instskip(SKIP_1) | instid1(VALU_DEP_3)
	v_add_f64 v[20:21], v[22:23], v[20:21]
	v_fma_f64 v[22:23], v[151:152], s[18:19], v[48:49]
	v_add_f64 v[24:25], v[26:27], v[24:25]
	v_fma_f64 v[26:27], v[151:152], s[18:19], -v[48:49]
	v_fma_f64 v[48:49], v[119:120], s[16:17], -v[50:51]
	s_delay_alu instid0(VALU_DEP_4) | instskip(NEXT) | instid1(VALU_DEP_3)
	v_add_f64 v[22:23], v[30:31], v[22:23]
	v_add_f64 v[26:27], v[30:31], v[26:27]
	s_delay_alu instid0(VALU_DEP_2) | instskip(SKIP_1) | instid1(VALU_DEP_3)
	v_add_f64 v[22:23], v[52:53], v[22:23]
	v_mul_f64 v[52:53], v[195:196], s[24:25]
	v_add_f64 v[26:27], v[48:49], v[26:27]
	s_delay_alu instid0(VALU_DEP_2) | instskip(SKIP_2) | instid1(VALU_DEP_3)
	v_fma_f64 v[54:55], v[123:124], s[6:7], -v[52:53]
	v_fma_f64 v[48:49], v[123:124], s[6:7], v[52:53]
	v_mul_f64 v[52:53], v[56:57], s[38:39]
	v_add_f64 v[20:21], v[54:55], v[20:21]
	v_mul_f64 v[54:55], v[197:198], s[24:25]
	s_delay_alu instid0(VALU_DEP_4) | instskip(NEXT) | instid1(VALU_DEP_2)
	v_add_f64 v[24:25], v[48:49], v[24:25]
	v_fma_f64 v[219:220], v[131:132], s[6:7], v[54:55]
	v_fma_f64 v[48:49], v[131:132], s[6:7], -v[54:55]
	v_mul_f64 v[54:55], v[58:59], s[42:43]
	s_delay_alu instid0(VALU_DEP_3) | instskip(SKIP_1) | instid1(VALU_DEP_4)
	v_add_f64 v[22:23], v[219:220], v[22:23]
	v_mul_f64 v[219:220], v[199:200], s[38:39]
	v_add_f64 v[26:27], v[48:49], v[26:27]
	s_delay_alu instid0(VALU_DEP_2) | instskip(SKIP_3) | instid1(VALU_DEP_4)
	v_fma_f64 v[221:222], v[127:128], s[20:21], -v[219:220]
	v_fma_f64 v[48:49], v[127:128], s[20:21], v[219:220]
	v_mul_f64 v[219:220], v[60:61], s[38:39]
	v_mul_f64 v[60:61], v[60:61], s[40:41]
	v_add_f64 v[20:21], v[221:222], v[20:21]
	v_mul_f64 v[221:222], v[201:202], s[38:39]
	v_add_f64 v[24:25], v[48:49], v[24:25]
	s_delay_alu instid0(VALU_DEP_2) | instskip(SKIP_3) | instid1(VALU_DEP_4)
	v_fma_f64 v[223:224], v[135:136], s[20:21], v[221:222]
	v_fma_f64 v[48:49], v[135:136], s[20:21], -v[221:222]
	v_mul_f64 v[221:222], v[62:63], s[42:43]
	v_mul_f64 v[62:63], v[62:63], s[44:45]
	v_add_f64 v[22:23], v[223:224], v[22:23]
	v_mul_f64 v[223:224], v[203:204], s[36:37]
	v_add_f64 v[26:27], v[48:49], v[26:27]
	s_delay_alu instid0(VALU_DEP_2) | instskip(SKIP_2) | instid1(VALU_DEP_3)
	v_fma_f64 v[225:226], v[139:140], s[14:15], -v[223:224]
	v_fma_f64 v[48:49], v[139:140], s[14:15], v[223:224]
	v_fma_f64 v[223:224], v[119:120], s[10:11], v[221:222]
	v_add_f64 v[20:21], v[225:226], v[20:21]
	v_mul_f64 v[225:226], v[205:206], s[36:37]
	s_delay_alu instid0(VALU_DEP_4) | instskip(NEXT) | instid1(VALU_DEP_2)
	v_add_f64 v[24:25], v[48:49], v[24:25]
	v_fma_f64 v[227:228], v[147:148], s[14:15], v[225:226]
	v_fma_f64 v[48:49], v[147:148], s[14:15], -v[225:226]
	s_delay_alu instid0(VALU_DEP_2) | instskip(SKIP_1) | instid1(VALU_DEP_3)
	v_add_f64 v[22:23], v[227:228], v[22:23]
	v_mul_f64 v[227:228], v[207:208], s[26:27]
	v_add_f64 v[26:27], v[48:49], v[26:27]
	s_delay_alu instid0(VALU_DEP_2) | instskip(SKIP_1) | instid1(VALU_DEP_2)
	v_fma_f64 v[229:230], v[155:156], s[8:9], -v[227:228]
	v_fma_f64 v[48:49], v[155:156], s[8:9], v[227:228]
	v_add_f64 v[20:21], v[229:230], v[20:21]
	v_mul_f64 v[229:230], v[209:210], s[26:27]
	s_delay_alu instid0(VALU_DEP_3) | instskip(NEXT) | instid1(VALU_DEP_2)
	v_add_f64 v[24:25], v[48:49], v[24:25]
	v_fma_f64 v[231:232], v[159:160], s[8:9], v[229:230]
	v_fma_f64 v[48:49], v[159:160], s[8:9], -v[229:230]
	s_delay_alu instid0(VALU_DEP_2) | instskip(SKIP_1) | instid1(VALU_DEP_3)
	v_add_f64 v[22:23], v[231:232], v[22:23]
	v_mul_f64 v[231:232], v[211:212], s[40:41]
	v_add_f64 v[26:27], v[48:49], v[26:27]
	s_delay_alu instid0(VALU_DEP_2) | instskip(SKIP_1) | instid1(VALU_DEP_2)
	v_fma_f64 v[233:234], v[163:164], s[22:23], -v[231:232]
	v_fma_f64 v[48:49], v[163:164], s[22:23], v[231:232]
	v_add_f64 v[20:21], v[233:234], v[20:21]
	v_mul_f64 v[233:234], v[213:214], s[40:41]
	s_delay_alu instid0(VALU_DEP_3) | instskip(NEXT) | instid1(VALU_DEP_2)
	v_add_f64 v[24:25], v[48:49], v[24:25]
	v_fma_f64 v[235:236], v[167:168], s[22:23], v[233:234]
	v_fma_f64 v[48:49], v[167:168], s[22:23], -v[233:234]
	s_delay_alu instid0(VALU_DEP_2) | instskip(SKIP_1) | instid1(VALU_DEP_3)
	v_add_f64 v[22:23], v[235:236], v[22:23]
	v_mul_f64 v[235:236], v[215:216], s[42:43]
	v_add_f64 v[26:27], v[48:49], v[26:27]
	s_delay_alu instid0(VALU_DEP_2) | instskip(SKIP_1) | instid1(VALU_DEP_2)
	v_fma_f64 v[237:238], v[171:172], s[10:11], -v[235:236]
	v_fma_f64 v[48:49], v[171:172], s[10:11], v[235:236]
	v_add_f64 v[20:21], v[237:238], v[20:21]
	v_mul_f64 v[237:238], v[217:218], s[42:43]
	s_delay_alu instid0(VALU_DEP_3) | instskip(SKIP_2) | instid1(VALU_DEP_4)
	v_add_f64 v[24:25], v[48:49], v[24:25]
	v_fma_f64 v[48:49], v[143:144], s[20:21], -v[52:53]
	v_fma_f64 v[52:53], v[143:144], s[20:21], v[52:53]
	v_fma_f64 v[50:51], v[175:176], s[10:11], -v[237:238]
	v_fma_f64 v[239:240], v[175:176], s[10:11], v[237:238]
	s_delay_alu instid0(VALU_DEP_4) | instskip(NEXT) | instid1(VALU_DEP_4)
	v_add_f64 v[48:49], v[28:29], v[48:49]
	v_add_f64 v[52:53], v[28:29], v[52:53]
	s_delay_alu instid0(VALU_DEP_4) | instskip(SKIP_3) | instid1(VALU_DEP_3)
	v_add_f64 v[26:27], v[50:51], v[26:27]
	v_fma_f64 v[50:51], v[115:116], s[10:11], -v[54:55]
	v_fma_f64 v[54:55], v[115:116], s[10:11], v[54:55]
	v_add_f64 v[22:23], v[239:240], v[22:23]
	v_add_f64 v[48:49], v[50:51], v[48:49]
	v_fma_f64 v[50:51], v[151:152], s[20:21], v[219:220]
	s_delay_alu instid0(VALU_DEP_4) | instskip(SKIP_2) | instid1(VALU_DEP_4)
	v_add_f64 v[52:53], v[54:55], v[52:53]
	v_fma_f64 v[54:55], v[151:152], s[20:21], -v[219:220]
	v_fma_f64 v[219:220], v[119:120], s[10:11], -v[221:222]
	v_add_f64 v[50:51], v[30:31], v[50:51]
	s_delay_alu instid0(VALU_DEP_3) | instskip(NEXT) | instid1(VALU_DEP_2)
	v_add_f64 v[54:55], v[30:31], v[54:55]
	v_add_f64 v[50:51], v[223:224], v[50:51]
	v_mul_f64 v[223:224], v[195:196], s[34:35]
	s_delay_alu instid0(VALU_DEP_3) | instskip(SKIP_1) | instid1(VALU_DEP_3)
	v_add_f64 v[54:55], v[219:220], v[54:55]
	v_mul_f64 v[195:196], v[195:196], s[38:39]
	v_fma_f64 v[225:226], v[123:124], s[14:15], -v[223:224]
	v_fma_f64 v[219:220], v[123:124], s[14:15], v[223:224]
	v_fma_f64 v[223:224], v[119:120], s[6:7], v[62:63]
	v_fma_f64 v[62:63], v[119:120], s[6:7], -v[62:63]
	s_delay_alu instid0(VALU_DEP_4) | instskip(SKIP_3) | instid1(VALU_DEP_3)
	v_add_f64 v[48:49], v[225:226], v[48:49]
	v_mul_f64 v[225:226], v[197:198], s[34:35]
	v_add_f64 v[52:53], v[219:220], v[52:53]
	v_mul_f64 v[197:198], v[197:198], s[38:39]
	v_fma_f64 v[227:228], v[131:132], s[14:15], v[225:226]
	v_fma_f64 v[219:220], v[131:132], s[14:15], -v[225:226]
	s_delay_alu instid0(VALU_DEP_2) | instskip(SKIP_1) | instid1(VALU_DEP_3)
	v_add_f64 v[50:51], v[227:228], v[50:51]
	v_mul_f64 v[227:228], v[199:200], s[50:51]
	v_add_f64 v[54:55], v[219:220], v[54:55]
	v_mul_f64 v[199:200], v[199:200], s[46:47]
	s_delay_alu instid0(VALU_DEP_3) | instskip(SKIP_1) | instid1(VALU_DEP_2)
	v_fma_f64 v[229:230], v[127:128], s[18:19], -v[227:228]
	v_fma_f64 v[219:220], v[127:128], s[18:19], v[227:228]
	v_add_f64 v[48:49], v[229:230], v[48:49]
	v_mul_f64 v[229:230], v[201:202], s[50:51]
	s_delay_alu instid0(VALU_DEP_3) | instskip(SKIP_1) | instid1(VALU_DEP_3)
	v_add_f64 v[52:53], v[219:220], v[52:53]
	v_mul_f64 v[201:202], v[201:202], s[46:47]
	v_fma_f64 v[231:232], v[135:136], s[18:19], v[229:230]
	v_fma_f64 v[219:220], v[135:136], s[18:19], -v[229:230]
	s_delay_alu instid0(VALU_DEP_2) | instskip(SKIP_1) | instid1(VALU_DEP_3)
	v_add_f64 v[50:51], v[231:232], v[50:51]
	v_mul_f64 v[231:232], v[203:204], s[24:25]
	v_add_f64 v[54:55], v[219:220], v[54:55]
	v_mul_f64 v[203:204], v[203:204], s[30:31]
	s_delay_alu instid0(VALU_DEP_3) | instskip(SKIP_1) | instid1(VALU_DEP_2)
	v_fma_f64 v[233:234], v[139:140], s[6:7], -v[231:232]
	v_fma_f64 v[219:220], v[139:140], s[6:7], v[231:232]
	v_add_f64 v[48:49], v[233:234], v[48:49]
	v_mul_f64 v[233:234], v[205:206], s[24:25]
	s_delay_alu instid0(VALU_DEP_3) | instskip(SKIP_1) | instid1(VALU_DEP_3)
	;; [unrolled: 15-line block ×4, first 2 shown]
	v_add_f64 v[52:53], v[219:220], v[52:53]
	v_mul_f64 v[213:214], v[213:214], s[28:29]
	v_fma_f64 v[243:244], v[167:168], s[8:9], v[241:242]
	v_fma_f64 v[219:220], v[167:168], s[8:9], -v[241:242]
	s_delay_alu instid0(VALU_DEP_2) | instskip(SKIP_1) | instid1(VALU_DEP_3)
	v_add_f64 v[50:51], v[243:244], v[50:51]
	v_mul_f64 v[243:244], v[215:216], s[28:29]
	v_add_f64 v[54:55], v[219:220], v[54:55]
	v_mul_f64 v[215:216], v[215:216], s[36:37]
	s_delay_alu instid0(VALU_DEP_3) | instskip(SKIP_1) | instid1(VALU_DEP_2)
	v_fma_f64 v[245:246], v[171:172], s[16:17], -v[243:244]
	v_fma_f64 v[219:220], v[171:172], s[16:17], v[243:244]
	v_add_f64 v[48:49], v[245:246], v[48:49]
	v_mul_f64 v[245:246], v[217:218], s[28:29]
	s_delay_alu instid0(VALU_DEP_3) | instskip(SKIP_2) | instid1(VALU_DEP_4)
	v_add_f64 v[52:53], v[219:220], v[52:53]
	v_mul_f64 v[219:220], v[56:57], s[40:41]
	v_mul_f64 v[217:218], v[217:218], s[36:37]
	v_fma_f64 v[221:222], v[175:176], s[16:17], -v[245:246]
	v_fma_f64 v[247:248], v[175:176], s[16:17], v[245:246]
	s_delay_alu instid0(VALU_DEP_4) | instskip(SKIP_1) | instid1(VALU_DEP_4)
	v_fma_f64 v[56:57], v[143:144], s[22:23], -v[219:220]
	v_fma_f64 v[219:220], v[143:144], s[22:23], v[219:220]
	v_add_f64 v[54:55], v[221:222], v[54:55]
	v_mul_f64 v[221:222], v[58:59], s[44:45]
	s_delay_alu instid0(VALU_DEP_4) | instskip(NEXT) | instid1(VALU_DEP_4)
	v_add_f64 v[56:57], v[28:29], v[56:57]
	v_add_f64 v[219:220], v[28:29], v[219:220]
	;; [unrolled: 1-line block ×3, first 2 shown]
	s_delay_alu instid0(VALU_DEP_4) | instskip(SKIP_1) | instid1(VALU_DEP_2)
	v_fma_f64 v[58:59], v[115:116], s[6:7], -v[221:222]
	v_fma_f64 v[221:222], v[115:116], s[6:7], v[221:222]
	v_add_f64 v[56:57], v[58:59], v[56:57]
	v_fma_f64 v[58:59], v[151:152], s[22:23], v[60:61]
	v_fma_f64 v[60:61], v[151:152], s[22:23], -v[60:61]
	s_delay_alu instid0(VALU_DEP_4) | instskip(NEXT) | instid1(VALU_DEP_3)
	v_add_f64 v[219:220], v[221:222], v[219:220]
	v_add_f64 v[58:59], v[30:31], v[58:59]
	s_delay_alu instid0(VALU_DEP_3) | instskip(NEXT) | instid1(VALU_DEP_2)
	v_add_f64 v[60:61], v[30:31], v[60:61]
	v_add_f64 v[58:59], v[223:224], v[58:59]
	v_fma_f64 v[223:224], v[123:124], s[20:21], -v[195:196]
	s_delay_alu instid0(VALU_DEP_3) | instskip(SKIP_2) | instid1(VALU_DEP_4)
	v_add_f64 v[60:61], v[62:63], v[60:61]
	v_fma_f64 v[62:63], v[123:124], s[20:21], v[195:196]
	v_fma_f64 v[195:196], v[131:132], s[20:21], -v[197:198]
	v_add_f64 v[56:57], v[223:224], v[56:57]
	v_fma_f64 v[223:224], v[131:132], s[20:21], v[197:198]
	s_delay_alu instid0(VALU_DEP_4) | instskip(NEXT) | instid1(VALU_DEP_4)
	v_add_f64 v[62:63], v[62:63], v[219:220]
	v_add_f64 v[60:61], v[195:196], v[60:61]
	v_fma_f64 v[195:196], v[127:128], s[8:9], v[199:200]
	v_fma_f64 v[197:198], v[175:176], s[14:15], -v[217:218]
	v_add_f64 v[58:59], v[223:224], v[58:59]
	v_fma_f64 v[223:224], v[127:128], s[8:9], -v[199:200]
	s_delay_alu instid0(VALU_DEP_4) | instskip(SKIP_1) | instid1(VALU_DEP_3)
	v_add_f64 v[62:63], v[195:196], v[62:63]
	v_fma_f64 v[195:196], v[135:136], s[8:9], -v[201:202]
	v_add_f64 v[56:57], v[223:224], v[56:57]
	v_fma_f64 v[223:224], v[135:136], s[8:9], v[201:202]
	s_delay_alu instid0(VALU_DEP_3) | instskip(SKIP_1) | instid1(VALU_DEP_3)
	v_add_f64 v[60:61], v[195:196], v[60:61]
	v_fma_f64 v[195:196], v[139:140], s[18:19], v[203:204]
	v_add_f64 v[58:59], v[223:224], v[58:59]
	v_fma_f64 v[223:224], v[139:140], s[18:19], -v[203:204]
	s_delay_alu instid0(VALU_DEP_3) | instskip(SKIP_1) | instid1(VALU_DEP_3)
	v_add_f64 v[62:63], v[195:196], v[62:63]
	v_fma_f64 v[195:196], v[147:148], s[18:19], -v[205:206]
	v_add_f64 v[56:57], v[223:224], v[56:57]
	v_fma_f64 v[223:224], v[147:148], s[18:19], v[205:206]
	s_delay_alu instid0(VALU_DEP_3) | instskip(SKIP_1) | instid1(VALU_DEP_3)
	v_add_f64 v[60:61], v[195:196], v[60:61]
	v_fma_f64 v[195:196], v[155:156], s[10:11], v[207:208]
	v_add_f64 v[58:59], v[223:224], v[58:59]
	v_fma_f64 v[223:224], v[155:156], s[10:11], -v[207:208]
	s_delay_alu instid0(VALU_DEP_3) | instskip(SKIP_1) | instid1(VALU_DEP_3)
	;; [unrolled: 10-line block ×3, first 2 shown]
	v_add_f64 v[62:63], v[195:196], v[62:63]
	v_fma_f64 v[195:196], v[167:168], s[16:17], -v[213:214]
	v_add_f64 v[56:57], v[223:224], v[56:57]
	v_fma_f64 v[223:224], v[167:168], s[16:17], v[213:214]
	s_delay_alu instid0(VALU_DEP_3) | instskip(SKIP_1) | instid1(VALU_DEP_3)
	v_add_f64 v[195:196], v[195:196], v[60:61]
	v_fma_f64 v[60:61], v[171:172], s[14:15], v[215:216]
	v_add_f64 v[58:59], v[223:224], v[58:59]
	v_fma_f64 v[223:224], v[171:172], s[14:15], -v[215:216]
	s_delay_alu instid0(VALU_DEP_3)
	v_add_f64 v[60:61], v[60:61], v[62:63]
	v_add_f64 v[62:63], v[197:198], v[195:196]
	scratch_load_b32 v195, off, off         ; 4-byte Folded Reload
	s_waitcnt vmcnt(0) lgkmcnt(0)
	s_waitcnt_vscnt null, 0x0
	s_barrier
	buffer_gl0_inv
	v_add_f64 v[56:57], v[223:224], v[56:57]
	v_fma_f64 v[223:224], v[175:176], s[14:15], v[217:218]
	s_delay_alu instid0(VALU_DEP_1)
	v_add_f64 v[58:59], v[223:224], v[58:59]
	v_mul_lo_u16 v196, v195, 17
	s_and_saveexec_b32 s24, vcc_lo
	s_cbranch_execz .LBB0_7
; %bb.6:
	v_add_f64 v[72:73], v[72:73], v[28:29]
	v_add_f64 v[74:75], v[74:75], v[30:31]
	s_delay_alu instid0(VALU_DEP_2) | instskip(NEXT) | instid1(VALU_DEP_2)
	v_add_f64 v[72:73], v[76:77], v[72:73]
	v_add_f64 v[74:75], v[78:79], v[74:75]
	v_mul_f64 v[76:77], v[135:136], s[10:11]
	v_mul_f64 v[78:79], v[127:128], s[10:11]
	s_delay_alu instid0(VALU_DEP_4) | instskip(NEXT) | instid1(VALU_DEP_4)
	v_add_f64 v[72:73], v[80:81], v[72:73]
	v_add_f64 v[74:75], v[82:83], v[74:75]
	s_delay_alu instid0(VALU_DEP_4) | instskip(NEXT) | instid1(VALU_DEP_4)
	v_add_f64 v[76:77], v[179:180], v[76:77]
	v_add_f64 v[78:79], v[78:79], -v[161:162]
	v_mul_f64 v[80:81], v[147:148], s[22:23]
	v_mul_f64 v[82:83], v[139:140], s[22:23]
	v_add_f64 v[72:73], v[84:85], v[72:73]
	v_add_f64 v[74:75], v[86:87], v[74:75]
	v_mul_f64 v[84:85], v[159:160], s[14:15]
	scratch_load_b64 v[86:87], off, off offset:276 ; 8-byte Folded Reload
	v_add_f64 v[80:81], v[183:184], v[80:81]
	v_add_f64 v[82:83], v[82:83], -v[169:170]
	v_add_f64 v[72:73], v[88:89], v[72:73]
	v_add_f64 v[74:75], v[90:91], v[74:75]
	;; [unrolled: 1-line block ×3, first 2 shown]
	s_delay_alu instid0(VALU_DEP_3) | instskip(NEXT) | instid1(VALU_DEP_3)
	v_add_f64 v[72:73], v[92:93], v[72:73]
	v_add_f64 v[74:75], v[94:95], v[74:75]
	s_delay_alu instid0(VALU_DEP_2) | instskip(NEXT) | instid1(VALU_DEP_2)
	v_add_f64 v[72:73], v[96:97], v[72:73]
	v_add_f64 v[74:75], v[98:99], v[74:75]
	s_delay_alu instid0(VALU_DEP_2) | instskip(NEXT) | instid1(VALU_DEP_2)
	;; [unrolled: 3-line block ×5, first 2 shown]
	v_add_f64 v[68:69], v[68:69], v[72:73]
	v_add_f64 v[70:71], v[74:75], v[70:71]
	scratch_load_b64 v[72:73], off, off offset:108 ; 8-byte Folded Reload
	v_mul_f64 v[74:75], v[115:116], s[20:21]
	v_add_f64 v[64:65], v[68:69], v[64:65]
	v_add_f64 v[66:67], v[70:71], v[66:67]
	s_clause 0x1
	scratch_load_b64 v[68:69], off, off offset:404
	scratch_load_b64 v[70:71], off, off offset:124
	v_add_f64 v[74:75], v[74:75], -v[149:150]
	v_add_f64 v[44:45], v[64:65], v[44:45]
	scratch_load_b64 v[64:65], off, off offset:460 ; 8-byte Folded Reload
	v_add_f64 v[46:47], v[66:67], v[46:47]
	scratch_load_b64 v[66:67], off, off offset:412 ; 8-byte Folded Reload
	v_add_f64 v[40:41], v[44:45], v[40:41]
	v_mul_f64 v[44:45], v[151:152], s[10:11]
	v_add_f64 v[42:43], v[46:47], v[42:43]
	v_mul_f64 v[46:47], v[143:144], s[10:11]
	s_delay_alu instid0(VALU_DEP_4) | instskip(SKIP_1) | instid1(VALU_DEP_4)
	v_add_f64 v[32:33], v[40:41], v[32:33]
	v_mul_f64 v[40:41], v[151:152], s[14:15]
	v_add_f64 v[34:35], v[42:43], v[34:35]
	v_mul_f64 v[42:43], v[143:144], s[14:15]
	v_add_f64 v[44:45], v[129:130], v[44:45]
	v_add_f64 v[32:33], v[32:33], v[36:37]
	v_mul_f64 v[36:37], v[151:152], s[16:17]
	v_add_f64 v[34:35], v[34:35], v[38:39]
	v_mul_f64 v[38:39], v[143:144], s[16:17]
	v_add_f64 v[40:41], v[145:146], v[40:41]
	v_add_f64 v[42:43], v[42:43], -v[141:142]
	v_add_f64 v[44:45], v[30:31], v[44:45]
	v_add_f64 v[36:37], v[193:194], v[36:37]
	v_add_f64 v[38:39], v[38:39], -v[191:192]
	v_add_f64 v[40:41], v[30:31], v[40:41]
	v_add_f64 v[42:43], v[28:29], v[42:43]
	s_delay_alu instid0(VALU_DEP_4) | instskip(NEXT) | instid1(VALU_DEP_4)
	v_add_f64 v[36:37], v[30:31], v[36:37]
	v_add_f64 v[38:39], v[28:29], v[38:39]
	s_waitcnt vmcnt(1)
	v_add_f64 v[46:47], v[46:47], -v[64:65]
	v_mul_f64 v[64:65], v[151:152], s[8:9]
	s_delay_alu instid0(VALU_DEP_2) | instskip(SKIP_1) | instid1(VALU_DEP_2)
	v_add_f64 v[46:47], v[28:29], v[46:47]
	s_waitcnt vmcnt(0)
	v_add_f64 v[64:65], v[66:67], v[64:65]
	v_mul_f64 v[66:67], v[143:144], s[8:9]
	s_delay_alu instid0(VALU_DEP_2) | instskip(NEXT) | instid1(VALU_DEP_2)
	v_add_f64 v[64:65], v[30:31], v[64:65]
	v_add_f64 v[66:67], v[66:67], -v[68:69]
	v_mul_f64 v[68:69], v[151:152], s[6:7]
	s_delay_alu instid0(VALU_DEP_2) | instskip(NEXT) | instid1(VALU_DEP_2)
	v_add_f64 v[66:67], v[28:29], v[66:67]
	v_add_f64 v[68:69], v[70:71], v[68:69]
	v_mul_f64 v[70:71], v[143:144], s[6:7]
	s_delay_alu instid0(VALU_DEP_2) | instskip(NEXT) | instid1(VALU_DEP_2)
	v_add_f64 v[68:69], v[30:31], v[68:69]
	v_add_f64 v[70:71], v[70:71], -v[72:73]
	v_mul_f64 v[30:31], v[119:120], s[20:21]
	v_mul_f64 v[72:73], v[123:124], s[8:9]
	s_delay_alu instid0(VALU_DEP_3) | instskip(SKIP_1) | instid1(VALU_DEP_4)
	v_add_f64 v[70:71], v[28:29], v[70:71]
	v_mul_f64 v[28:29], v[131:132], s[8:9]
	v_add_f64 v[30:31], v[153:154], v[30:31]
	s_delay_alu instid0(VALU_DEP_4) | instskip(NEXT) | instid1(VALU_DEP_3)
	v_add_f64 v[72:73], v[72:73], -v[157:158]
	v_add_f64 v[28:29], v[181:182], v[28:29]
	s_delay_alu instid0(VALU_DEP_3) | instskip(SKIP_3) | instid1(VALU_DEP_4)
	v_add_f64 v[30:31], v[30:31], v[36:37]
	v_add_f64 v[36:37], v[74:75], v[38:39]
	v_mul_f64 v[38:39], v[155:156], s[14:15]
	v_mul_f64 v[74:75], v[175:176], s[18:19]
	v_add_f64 v[28:29], v[28:29], v[30:31]
	s_delay_alu instid0(VALU_DEP_4) | instskip(NEXT) | instid1(VALU_DEP_4)
	v_add_f64 v[30:31], v[72:73], v[36:37]
	v_add_f64 v[38:39], v[38:39], -v[177:178]
	v_mul_f64 v[36:37], v[167:168], s[6:7]
	v_mul_f64 v[72:73], v[163:164], s[6:7]
	v_add_f64 v[74:75], v[185:186], v[74:75]
	v_add_f64 v[28:29], v[76:77], v[28:29]
	;; [unrolled: 1-line block ×3, first 2 shown]
	v_mul_f64 v[78:79], v[127:128], s[6:7]
	v_add_f64 v[36:37], v[187:188], v[36:37]
	v_add_f64 v[72:73], v[72:73], -v[173:174]
	v_add_f64 v[28:29], v[80:81], v[28:29]
	v_add_f64 v[30:31], v[82:83], v[30:31]
	v_mul_f64 v[82:83], v[139:140], s[10:11]
	scratch_load_b64 v[80:81], off, off offset:444 ; 8-byte Folded Reload
	v_add_f64 v[28:29], v[84:85], v[28:29]
	v_add_f64 v[30:31], v[38:39], v[30:31]
	v_mul_f64 v[38:39], v[171:172], s[18:19]
	v_add_f64 v[82:83], v[82:83], -v[249:250]
	v_mul_f64 v[84:85], v[159:160], s[20:21]
	v_add_f64 v[28:29], v[36:37], v[28:29]
	v_add_f64 v[36:37], v[72:73], v[30:31]
	scratch_load_b64 v[72:73], off, off offset:428 ; 8-byte Folded Reload
	v_add_f64 v[38:39], v[38:39], -v[165:166]
	v_add_f64 v[84:85], v[133:134], v[84:85]
	v_add_f64 v[30:31], v[74:75], v[28:29]
	s_clause 0x1
	scratch_load_b64 v[74:75], off, off offset:436
	scratch_load_b64 v[76:77], off, off offset:420
	v_add_f64 v[28:29], v[38:39], v[36:37]
	v_mul_f64 v[38:39], v[119:120], s[22:23]
	v_mul_f64 v[36:37], v[131:132], s[16:17]
	s_delay_alu instid0(VALU_DEP_1) | instskip(SKIP_3) | instid1(VALU_DEP_1)
	v_add_f64 v[36:37], v[117:118], v[36:37]
	s_waitcnt vmcnt(3)
	v_add_f64 v[78:79], v[78:79], -v[80:81]
	v_mul_f64 v[80:81], v[147:148], s[10:11]
	v_add_f64 v[80:81], v[121:122], v[80:81]
	s_waitcnt vmcnt(2)
	v_add_f64 v[38:39], v[72:73], v[38:39]
	v_mul_f64 v[72:73], v[123:124], s[16:17]
	s_delay_alu instid0(VALU_DEP_2) | instskip(SKIP_1) | instid1(VALU_DEP_2)
	v_add_f64 v[38:39], v[38:39], v[40:41]
	s_waitcnt vmcnt(1)
	v_add_f64 v[72:73], v[72:73], -v[74:75]
	v_mul_f64 v[74:75], v[115:116], s[22:23]
	s_delay_alu instid0(VALU_DEP_3) | instskip(SKIP_1) | instid1(VALU_DEP_2)
	v_add_f64 v[36:37], v[36:37], v[38:39]
	s_waitcnt vmcnt(0)
	v_add_f64 v[74:75], v[74:75], -v[76:77]
	v_mul_f64 v[76:77], v[135:136], s[6:7]
	s_delay_alu instid0(VALU_DEP_2) | instskip(NEXT) | instid1(VALU_DEP_2)
	v_add_f64 v[40:41], v[74:75], v[42:43]
	v_add_f64 v[76:77], v[113:114], v[76:77]
	v_mul_f64 v[42:43], v[155:156], s[20:21]
	v_mul_f64 v[74:75], v[175:176], s[8:9]
	s_delay_alu instid0(VALU_DEP_4) | instskip(NEXT) | instid1(VALU_DEP_4)
	v_add_f64 v[38:39], v[72:73], v[40:41]
	v_add_f64 v[36:37], v[76:77], v[36:37]
	scratch_load_b64 v[76:77], off, off offset:452 ; 8-byte Folded Reload
	v_add_f64 v[42:43], v[42:43], -v[251:252]
	v_mul_f64 v[40:41], v[167:168], s[18:19]
	v_mul_f64 v[72:73], v[163:164], s[18:19]
	v_add_f64 v[74:75], v[125:126], v[74:75]
	v_add_f64 v[38:39], v[78:79], v[38:39]
	;; [unrolled: 1-line block ×3, first 2 shown]
	s_clause 0x1
	scratch_load_b64 v[78:79], off, off offset:228
	scratch_load_b64 v[80:81], off, off offset:204
	v_add_f64 v[40:41], v[137:138], v[40:41]
	v_add_f64 v[72:73], v[72:73], -v[253:254]
	v_add_f64 v[38:39], v[82:83], v[38:39]
	v_add_f64 v[36:37], v[84:85], v[36:37]
	scratch_load_b64 v[82:83], off, off offset:268 ; 8-byte Folded Reload
	v_add_f64 v[38:39], v[42:43], v[38:39]
	v_mul_f64 v[42:43], v[171:172], s[8:9]
	v_add_f64 v[36:37], v[40:41], v[36:37]
	s_delay_alu instid0(VALU_DEP_3)
	v_add_f64 v[40:41], v[72:73], v[38:39]
	scratch_load_b64 v[72:73], off, off offset:188 ; 8-byte Folded Reload
	v_add_f64 v[38:39], v[74:75], v[36:37]
	scratch_load_b64 v[74:75], off, off offset:196 ; 8-byte Folded Reload
	s_waitcnt vmcnt(5)
	v_add_f64 v[42:43], v[42:43], -v[76:77]
	scratch_load_b64 v[76:77], off, off offset:180 ; 8-byte Folded Reload
	v_add_f64 v[36:37], v[42:43], v[40:41]
	scratch_load_b64 v[42:43], off, off offset:260 ; 8-byte Folded Reload
	v_mul_f64 v[40:41], v[131:132], s[18:19]
	s_waitcnt vmcnt(0)
	s_delay_alu instid0(VALU_DEP_1) | instskip(SKIP_1) | instid1(VALU_DEP_1)
	v_add_f64 v[40:41], v[42:43], v[40:41]
	v_mul_f64 v[42:43], v[119:120], s[14:15]
	v_add_f64 v[42:43], v[72:73], v[42:43]
	v_mul_f64 v[72:73], v[123:124], s[18:19]
	s_delay_alu instid0(VALU_DEP_2) | instskip(NEXT) | instid1(VALU_DEP_2)
	v_add_f64 v[42:43], v[42:43], v[64:65]
	v_add_f64 v[72:73], v[72:73], -v[74:75]
	v_mul_f64 v[74:75], v[115:116], s[14:15]
	s_delay_alu instid0(VALU_DEP_3) | instskip(NEXT) | instid1(VALU_DEP_2)
	v_add_f64 v[40:41], v[40:41], v[42:43]
	v_add_f64 v[74:75], v[74:75], -v[76:77]
	v_mul_f64 v[76:77], v[135:136], s[22:23]
	s_delay_alu instid0(VALU_DEP_2)
	v_add_f64 v[64:65], v[74:75], v[66:67]
	s_clause 0x1
	scratch_load_b64 v[74:75], off, off offset:236
	scratch_load_b64 v[84:85], off, off offset:220
	v_add_f64 v[76:77], v[78:79], v[76:77]
	v_mul_f64 v[78:79], v[127:128], s[22:23]
	v_mul_f64 v[66:67], v[155:156], s[16:17]
	v_add_f64 v[42:43], v[72:73], v[64:65]
	scratch_load_b64 v[72:73], off, off offset:284 ; 8-byte Folded Reload
	v_mul_f64 v[64:65], v[167:168], s[10:11]
	v_add_f64 v[40:41], v[76:77], v[40:41]
	scratch_load_b64 v[76:77], off, off offset:300 ; 8-byte Folded Reload
	v_add_f64 v[78:79], v[78:79], -v[80:81]
	v_mul_f64 v[80:81], v[147:148], s[20:21]
	s_delay_alu instid0(VALU_DEP_2) | instskip(NEXT) | instid1(VALU_DEP_2)
	v_add_f64 v[42:43], v[78:79], v[42:43]
	v_add_f64 v[80:81], v[82:83], v[80:81]
	v_mul_f64 v[82:83], v[139:140], s[20:21]
	scratch_load_b64 v[78:79], off, off offset:356 ; 8-byte Folded Reload
	v_add_f64 v[40:41], v[80:81], v[40:41]
	scratch_load_b64 v[80:81], off, off offset:316 ; 8-byte Folded Reload
	s_waitcnt vmcnt(5)
	v_add_f64 v[66:67], v[66:67], -v[74:75]
	s_waitcnt vmcnt(4)
	v_add_f64 v[82:83], v[82:83], -v[84:85]
	v_mul_f64 v[84:85], v[159:160], s[16:17]
	s_delay_alu instid0(VALU_DEP_2) | instskip(NEXT) | instid1(VALU_DEP_2)
	v_add_f64 v[42:43], v[82:83], v[42:43]
	v_add_f64 v[84:85], v[86:87], v[84:85]
	s_clause 0x1
	scratch_load_b64 v[86:87], off, off offset:396
	scratch_load_b64 v[82:83], off, off offset:380
	v_add_f64 v[42:43], v[66:67], v[42:43]
	v_add_f64 v[40:41], v[84:85], v[40:41]
	s_clause 0x1
	scratch_load_b64 v[84:85], off, off offset:340
	scratch_load_b64 v[74:75], off, off offset:244
	s_waitcnt vmcnt(7)
	v_add_f64 v[64:65], v[72:73], v[64:65]
	v_mul_f64 v[72:73], v[163:164], s[10:11]
	v_mul_f64 v[66:67], v[171:172], s[6:7]
	s_delay_alu instid0(VALU_DEP_3) | instskip(SKIP_1) | instid1(VALU_DEP_3)
	v_add_f64 v[40:41], v[64:65], v[40:41]
	s_waitcnt vmcnt(0)
	v_add_f64 v[72:73], v[72:73], -v[74:75]
	v_mul_f64 v[74:75], v[175:176], s[6:7]
	s_delay_alu instid0(VALU_DEP_2) | instskip(NEXT) | instid1(VALU_DEP_2)
	v_add_f64 v[64:65], v[72:73], v[42:43]
	v_add_f64 v[74:75], v[76:77], v[74:75]
	s_clause 0x1
	scratch_load_b64 v[76:77], off, off offset:252
	scratch_load_b64 v[72:73], off, off offset:292
	v_add_f64 v[42:43], v[74:75], v[40:41]
	scratch_load_b64 v[74:75], off, off offset:308 ; 8-byte Folded Reload
	s_waitcnt vmcnt(2)
	v_add_f64 v[66:67], v[66:67], -v[76:77]
	scratch_load_b64 v[76:77], off, off offset:212 ; 8-byte Folded Reload
	v_add_f64 v[40:41], v[66:67], v[64:65]
	scratch_load_b64 v[66:67], off, off offset:364 ; 8-byte Folded Reload
	v_mul_f64 v[64:65], v[131:132], s[22:23]
	s_waitcnt vmcnt(0)
	s_delay_alu instid0(VALU_DEP_1) | instskip(SKIP_1) | instid1(VALU_DEP_1)
	v_add_f64 v[64:65], v[66:67], v[64:65]
	v_mul_f64 v[66:67], v[119:120], s[18:19]
	v_add_f64 v[66:67], v[72:73], v[66:67]
	v_mul_f64 v[72:73], v[123:124], s[22:23]
	s_delay_alu instid0(VALU_DEP_2) | instskip(NEXT) | instid1(VALU_DEP_2)
	v_add_f64 v[44:45], v[66:67], v[44:45]
	v_add_f64 v[72:73], v[72:73], -v[74:75]
	v_mul_f64 v[74:75], v[115:116], s[18:19]
	v_mul_f64 v[66:67], v[155:156], s[6:7]
	s_delay_alu instid0(VALU_DEP_4) | instskip(SKIP_1) | instid1(VALU_DEP_4)
	v_add_f64 v[44:45], v[64:65], v[44:45]
	v_mul_f64 v[64:65], v[167:168], s[14:15]
	v_add_f64 v[74:75], v[74:75], -v[76:77]
	v_mul_f64 v[76:77], v[135:136], s[16:17]
	s_delay_alu instid0(VALU_DEP_2)
	v_add_f64 v[46:47], v[74:75], v[46:47]
	scratch_load_b64 v[74:75], off, off offset:348 ; 8-byte Folded Reload
	v_add_f64 v[76:77], v[78:79], v[76:77]
	v_mul_f64 v[78:79], v[127:128], s[16:17]
	v_add_f64 v[46:47], v[72:73], v[46:47]
	scratch_load_b64 v[72:73], off, off offset:388 ; 8-byte Folded Reload
	v_add_f64 v[44:45], v[76:77], v[44:45]
	v_add_f64 v[78:79], v[78:79], -v[80:81]
	v_mul_f64 v[80:81], v[147:148], s[8:9]
	scratch_load_b64 v[76:77], off, off offset:372 ; 8-byte Folded Reload
	v_add_f64 v[46:47], v[78:79], v[46:47]
	scratch_load_b64 v[78:79], off, off offset:92 ; 8-byte Folded Reload
	s_waitcnt vmcnt(3)
	v_add_f64 v[66:67], v[66:67], -v[74:75]
	scratch_load_b64 v[74:75], off, off offset:332 ; 8-byte Folded Reload
	s_waitcnt vmcnt(3)
	v_add_f64 v[64:65], v[72:73], v[64:65]
	v_mul_f64 v[72:73], v[163:164], s[14:15]
	s_waitcnt vmcnt(0)
	s_delay_alu instid0(VALU_DEP_1) | instskip(SKIP_1) | instid1(VALU_DEP_1)
	v_add_f64 v[72:73], v[72:73], -v[74:75]
	v_mul_f64 v[74:75], v[175:176], s[20:21]
	v_add_f64 v[74:75], v[76:77], v[74:75]
	scratch_load_b64 v[76:77], off, off offset:324 ; 8-byte Folded Reload
	v_add_f64 v[80:81], v[82:83], v[80:81]
	v_mul_f64 v[82:83], v[139:140], s[8:9]
	s_delay_alu instid0(VALU_DEP_2) | instskip(NEXT) | instid1(VALU_DEP_2)
	v_add_f64 v[44:45], v[80:81], v[44:45]
	v_add_f64 v[82:83], v[82:83], -v[84:85]
	v_mul_f64 v[84:85], v[159:160], s[6:7]
	scratch_load_b64 v[80:81], off, off offset:76 ; 8-byte Folded Reload
	v_add_f64 v[46:47], v[82:83], v[46:47]
	v_add_f64 v[84:85], v[86:87], v[84:85]
	s_clause 0x1
	scratch_load_b64 v[82:83], off, off offset:116
	scratch_load_b64 v[86:87], off, off offset:140
	v_add_f64 v[46:47], v[66:67], v[46:47]
	v_add_f64 v[44:45], v[84:85], v[44:45]
	v_mul_f64 v[66:67], v[171:172], s[20:21]
	scratch_load_b64 v[84:85], off, off offset:100 ; 8-byte Folded Reload
	v_add_f64 v[44:45], v[64:65], v[44:45]
	v_add_f64 v[64:65], v[72:73], v[46:47]
	scratch_load_b64 v[72:73], off, off offset:44 ; 8-byte Folded Reload
	v_add_f64 v[46:47], v[74:75], v[44:45]
	s_waitcnt vmcnt(5)
	v_add_f64 v[66:67], v[66:67], -v[76:77]
	s_clause 0x1
	scratch_load_b64 v[76:77], off, off offset:60
	scratch_load_b64 v[74:75], off, off offset:28
	v_add_f64 v[44:45], v[66:67], v[64:65]
	scratch_load_b64 v[66:67], off, off offset:84 ; 8-byte Folded Reload
	v_mul_f64 v[64:65], v[131:132], s[10:11]
	s_waitcnt vmcnt(0)
	s_delay_alu instid0(VALU_DEP_1) | instskip(SKIP_1) | instid1(VALU_DEP_1)
	v_add_f64 v[64:65], v[66:67], v[64:65]
	v_mul_f64 v[66:67], v[119:120], s[8:9]
	v_add_f64 v[66:67], v[72:73], v[66:67]
	v_mul_f64 v[72:73], v[115:116], s[8:9]
	s_delay_alu instid0(VALU_DEP_2) | instskip(NEXT) | instid1(VALU_DEP_2)
	v_add_f64 v[66:67], v[66:67], v[68:69]
	v_add_f64 v[72:73], v[72:73], -v[74:75]
	v_mul_f64 v[74:75], v[123:124], s[10:11]
	s_delay_alu instid0(VALU_DEP_3) | instskip(NEXT) | instid1(VALU_DEP_3)
	v_add_f64 v[64:65], v[64:65], v[66:67]
	v_add_f64 v[68:69], v[72:73], v[70:71]
	s_delay_alu instid0(VALU_DEP_3) | instskip(SKIP_2) | instid1(VALU_DEP_3)
	v_add_f64 v[74:75], v[74:75], -v[76:77]
	v_mul_f64 v[76:77], v[135:136], s[14:15]
	v_mul_f64 v[70:71], v[155:156], s[18:19]
	v_add_f64 v[66:67], v[74:75], v[68:69]
	s_delay_alu instid0(VALU_DEP_3)
	v_add_f64 v[76:77], v[78:79], v[76:77]
	scratch_load_b64 v[74:75], off, off offset:148 ; 8-byte Folded Reload
	v_mul_f64 v[68:69], v[167:168], s[20:21]
	v_mul_f64 v[78:79], v[127:128], s[14:15]
	v_add_f64 v[64:65], v[76:77], v[64:65]
	s_clause 0x1
	scratch_load_b64 v[76:77], off, off offset:172
	scratch_load_b64 v[72:73], off, off offset:132
	v_add_f64 v[78:79], v[78:79], -v[80:81]
	v_mul_f64 v[80:81], v[147:148], s[16:17]
	s_delay_alu instid0(VALU_DEP_2) | instskip(NEXT) | instid1(VALU_DEP_2)
	v_add_f64 v[66:67], v[78:79], v[66:67]
	v_add_f64 v[80:81], v[82:83], v[80:81]
	v_mul_f64 v[82:83], v[139:140], s[16:17]
	s_delay_alu instid0(VALU_DEP_2) | instskip(NEXT) | instid1(VALU_DEP_2)
	v_add_f64 v[64:65], v[80:81], v[64:65]
	v_add_f64 v[82:83], v[82:83], -v[84:85]
	v_mul_f64 v[84:85], v[159:160], s[18:19]
	s_delay_alu instid0(VALU_DEP_2) | instskip(NEXT) | instid1(VALU_DEP_2)
	v_add_f64 v[66:67], v[82:83], v[66:67]
	v_add_f64 v[84:85], v[86:87], v[84:85]
	s_delay_alu instid0(VALU_DEP_1)
	v_add_f64 v[64:65], v[84:85], v[64:65]
	s_waitcnt vmcnt(0)
	v_add_f64 v[70:71], v[70:71], -v[72:73]
	scratch_load_b64 v[72:73], off, off offset:156 ; 8-byte Folded Reload
	v_add_f64 v[66:67], v[70:71], v[66:67]
	v_mul_f64 v[70:71], v[171:172], s[22:23]
	s_waitcnt vmcnt(0)
	v_add_f64 v[68:69], v[72:73], v[68:69]
	v_mul_f64 v[72:73], v[163:164], s[20:21]
	s_delay_alu instid0(VALU_DEP_2) | instskip(NEXT) | instid1(VALU_DEP_2)
	v_add_f64 v[64:65], v[68:69], v[64:65]
	v_add_f64 v[72:73], v[72:73], -v[74:75]
	v_mul_f64 v[74:75], v[175:176], s[22:23]
	s_delay_alu instid0(VALU_DEP_2) | instskip(NEXT) | instid1(VALU_DEP_2)
	v_add_f64 v[68:69], v[72:73], v[66:67]
	v_add_f64 v[74:75], v[76:77], v[74:75]
	scratch_load_b64 v[76:77], off, off offset:164 ; 8-byte Folded Reload
	v_add_f64 v[66:67], v[74:75], v[64:65]
	s_waitcnt vmcnt(0)
	v_add_f64 v[70:71], v[70:71], -v[76:77]
	s_delay_alu instid0(VALU_DEP_1) | instskip(SKIP_1) | instid1(VALU_DEP_1)
	v_add_f64 v[64:65], v[70:71], v[68:69]
	v_and_b32_e32 v68, 0xffff, v196
	v_add_lshl_u32 v68, v112, v68, 4
	ds_store_b128 v68, v[40:43] offset:32
	ds_store_b128 v68, v[44:47] offset:48
	;; [unrolled: 1-line block ×5, first 2 shown]
	ds_store_b128 v68, v[32:35]
	ds_store_b128 v68, v[20:23] offset:96
	ds_store_b128 v68, v[48:51] offset:112
	;; [unrolled: 1-line block ×11, first 2 shown]
.LBB0_7:
	s_or_b32 exec_lo, exec_lo, s24
	v_mad_u64_u32 v[36:37], null, 0x50, v195, s[0:1]
	s_load_b128 s[0:3], s[2:3], 0x0
	s_waitcnt lgkmcnt(0)
	s_barrier
	buffer_gl0_inv
	v_add_lshl_u32 v112, v112, v195, 4
	s_mov_b32 s6, 0xe8584caa
	s_clause 0x4
	global_load_b128 v[197:200], v[36:37], off offset:32
	global_load_b128 v[44:47], v[36:37], off offset:64
	global_load_b128 v[32:35], v[36:37], off
	global_load_b128 v[40:43], v[36:37], off offset:16
	global_load_b128 v[36:39], v[36:37], off offset:48
	ds_load_b128 v[64:67], v112 offset:816
	ds_load_b128 v[68:71], v112 offset:1360
	;; [unrolled: 1-line block ×3, first 2 shown]
	s_mov_b32 s7, 0x3febb67a
	s_mov_b32 s9, 0xbfebb67a
	s_mov_b32 s8, s6
	s_waitcnt vmcnt(4) lgkmcnt(2)
	v_mul_f64 v[76:77], v[66:67], v[199:200]
	v_mul_f64 v[78:79], v[64:65], v[199:200]
	s_waitcnt vmcnt(3) lgkmcnt(1)
	v_mul_f64 v[80:81], v[68:69], v[46:47]
	v_mul_f64 v[82:83], v[70:71], v[46:47]
	;; [unrolled: 3-line block ×3, first 2 shown]
	v_fma_f64 v[76:77], v[64:65], v[197:198], -v[76:77]
	v_fma_f64 v[78:79], v[66:67], v[197:198], v[78:79]
	v_fma_f64 v[80:81], v[70:71], v[44:45], v[80:81]
	v_fma_f64 v[82:83], v[68:69], v[44:45], -v[82:83]
	ds_load_b128 v[64:67], v112 offset:544
	ds_load_b128 v[68:71], v112 offset:1088
	scratch_load_b32 v28, off, off offset:4 ; 4-byte Folded Reload
	v_fma_f64 v[72:73], v[72:73], v[32:33], -v[84:85]
	v_fma_f64 v[74:75], v[74:75], v[32:33], v[86:87]
	s_waitcnt vmcnt(2) lgkmcnt(1)
	v_mul_f64 v[88:89], v[66:67], v[42:43]
	v_mul_f64 v[90:91], v[64:65], v[42:43]
	s_waitcnt vmcnt(1) lgkmcnt(0)
	v_mul_f64 v[92:93], v[70:71], v[38:39]
	v_mul_f64 v[94:95], v[68:69], v[38:39]
	v_add_f64 v[84:85], v[78:79], v[80:81]
	v_add_f64 v[86:87], v[76:77], v[82:83]
	v_fma_f64 v[88:89], v[64:65], v[40:41], -v[88:89]
	v_fma_f64 v[90:91], v[66:67], v[40:41], v[90:91]
	v_fma_f64 v[68:69], v[68:69], v[36:37], -v[92:93]
	v_fma_f64 v[70:71], v[70:71], v[36:37], v[94:95]
	v_add_f64 v[64:65], v[78:79], -v[80:81]
	v_add_f64 v[66:67], v[76:77], -v[82:83]
	v_fma_f64 v[84:85], v[84:85], -0.5, v[74:75]
	v_fma_f64 v[86:87], v[86:87], -0.5, v[72:73]
	v_add_f64 v[72:73], v[72:73], v[76:77]
	v_add_f64 v[74:75], v[74:75], v[78:79]
	;; [unrolled: 1-line block ×4, first 2 shown]
	v_add_f64 v[104:105], v[90:91], -v[70:71]
	v_add_f64 v[76:77], v[88:89], -v[68:69]
	v_fma_f64 v[96:97], v[66:67], s[8:9], v[84:85]
	v_fma_f64 v[98:99], v[64:65], s[8:9], v[86:87]
	;; [unrolled: 1-line block ×4, first 2 shown]
	ds_load_b128 v[64:67], v112
	v_add_f64 v[72:73], v[72:73], v[82:83]
	v_add_f64 v[74:75], v[74:75], v[80:81]
	s_waitcnt lgkmcnt(0)
	v_add_f64 v[102:103], v[64:65], v[88:89]
	v_add_f64 v[90:91], v[66:67], v[90:91]
	v_fma_f64 v[64:65], v[92:93], -0.5, v[64:65]
	v_fma_f64 v[66:67], v[94:95], -0.5, v[66:67]
	v_mul_f64 v[78:79], v[96:97], s[6:7]
	v_mul_f64 v[88:89], v[98:99], -0.5
	v_mul_f64 v[92:93], v[86:87], s[8:9]
	v_mul_f64 v[94:95], v[84:85], -0.5
	v_add_f64 v[68:69], v[102:103], v[68:69]
	v_add_f64 v[70:71], v[90:91], v[70:71]
	v_fma_f64 v[80:81], v[104:105], s[6:7], v[64:65]
	v_fma_f64 v[82:83], v[104:105], s[8:9], v[64:65]
	;; [unrolled: 1-line block ×4, first 2 shown]
	v_fma_f64 v[86:87], v[86:87], 0.5, v[78:79]
	v_fma_f64 v[84:85], v[84:85], s[6:7], v[88:89]
	v_fma_f64 v[88:89], v[96:97], 0.5, v[92:93]
	v_fma_f64 v[92:93], v[98:99], s[8:9], v[94:95]
	v_add_f64 v[64:65], v[68:69], v[72:73]
	v_add_f64 v[66:67], v[70:71], v[74:75]
	v_add_f64 v[76:77], v[68:69], -v[72:73]
	v_add_f64 v[78:79], v[70:71], -v[74:75]
	v_add_f64 v[68:69], v[80:81], v[86:87]
	v_add_f64 v[72:73], v[82:83], v[84:85]
	;; [unrolled: 1-line block ×4, first 2 shown]
	v_add_f64 v[80:81], v[80:81], -v[86:87]
	v_add_f64 v[84:85], v[82:83], -v[84:85]
	;; [unrolled: 1-line block ×4, first 2 shown]
	s_waitcnt vmcnt(0)
	v_lshl_add_u32 v100, v195, 4, v28
	ds_store_b128 v100, v[64:67]
	ds_store_b128 v100, v[68:71] offset:272
	ds_store_b128 v100, v[72:75] offset:544
	;; [unrolled: 1-line block ×5, first 2 shown]
	s_waitcnt lgkmcnt(0)
	s_barrier
	buffer_gl0_inv
	s_and_saveexec_b32 s8, vcc_lo
	s_cbranch_execz .LBB0_9
; %bb.8:
	v_lshlrev_b32_e32 v28, 4, v195
	s_add_u32 s6, s4, 0x660
	s_addc_u32 s7, s5, 0
	s_clause 0x4
	global_load_b128 v[88:91], v28, s[4:5] offset:1632
	global_load_b128 v[92:95], v28, s[6:7] offset:96
	;; [unrolled: 1-line block ×5, first 2 shown]
	ds_load_b128 v[113:116], v100
	ds_load_b128 v[117:120], v100 offset:96
	ds_load_b128 v[121:124], v100 offset:192
	global_load_b128 v[125:128], v28, s[6:7] offset:480
	s_waitcnt vmcnt(4) lgkmcnt(1)
	v_mul_f64 v[129:130], v[119:120], v[94:95]
	v_mul_f64 v[94:95], v[117:118], v[94:95]
	;; [unrolled: 1-line block ×4, first 2 shown]
	s_delay_alu instid0(VALU_DEP_4) | instskip(NEXT) | instid1(VALU_DEP_4)
	v_fma_f64 v[117:118], v[117:118], v[92:93], -v[129:130]
	v_fma_f64 v[119:120], v[119:120], v[92:93], v[94:95]
	s_delay_alu instid0(VALU_DEP_4) | instskip(NEXT) | instid1(VALU_DEP_4)
	v_fma_f64 v[113:114], v[113:114], v[88:89], -v[110:111]
	v_fma_f64 v[115:116], v[115:116], v[88:89], v[90:91]
	ds_load_b128 v[88:91], v100 offset:288
	s_waitcnt vmcnt(3) lgkmcnt(1)
	v_mul_f64 v[92:93], v[123:124], v[98:99]
	v_mul_f64 v[94:95], v[121:122], v[98:99]
	s_waitcnt vmcnt(2) lgkmcnt(0)
	v_mul_f64 v[110:111], v[90:91], v[104:105]
	v_mul_f64 v[104:105], v[88:89], v[104:105]
	s_delay_alu instid0(VALU_DEP_4) | instskip(NEXT) | instid1(VALU_DEP_4)
	v_fma_f64 v[92:93], v[121:122], v[96:97], -v[92:93]
	v_fma_f64 v[94:95], v[123:124], v[96:97], v[94:95]
	ds_load_b128 v[96:99], v100 offset:384
	ds_load_b128 v[121:124], v100 offset:480
	v_fma_f64 v[88:89], v[88:89], v[102:103], -v[110:111]
	v_fma_f64 v[90:91], v[90:91], v[102:103], v[104:105]
	s_waitcnt vmcnt(1) lgkmcnt(1)
	v_mul_f64 v[110:111], v[98:99], v[108:109]
	global_load_b128 v[102:105], v28, s[6:7] offset:576
	v_mul_f64 v[108:109], v[96:97], v[108:109]
	v_fma_f64 v[96:97], v[96:97], v[106:107], -v[110:111]
	s_waitcnt vmcnt(1) lgkmcnt(0)
	v_mul_f64 v[110:111], v[123:124], v[127:128]
	s_delay_alu instid0(VALU_DEP_3) | instskip(SKIP_3) | instid1(VALU_DEP_2)
	v_fma_f64 v[98:99], v[98:99], v[106:107], v[108:109]
	global_load_b128 v[106:109], v28, s[6:7] offset:672
	v_mul_f64 v[127:128], v[121:122], v[127:128]
	v_fma_f64 v[121:122], v[121:122], v[125:126], -v[110:111]
	v_fma_f64 v[123:124], v[123:124], v[125:126], v[127:128]
	ds_load_b128 v[125:128], v100 offset:576
	ds_load_b128 v[129:132], v100 offset:672
	s_waitcnt vmcnt(1) lgkmcnt(1)
	v_mul_f64 v[110:111], v[127:128], v[104:105]
	v_mul_f64 v[104:105], v[125:126], v[104:105]
	s_delay_alu instid0(VALU_DEP_2) | instskip(NEXT) | instid1(VALU_DEP_2)
	v_fma_f64 v[125:126], v[125:126], v[102:103], -v[110:111]
	v_fma_f64 v[127:128], v[127:128], v[102:103], v[104:105]
	s_waitcnt vmcnt(0) lgkmcnt(0)
	v_mul_f64 v[102:103], v[131:132], v[108:109]
	v_mul_f64 v[104:105], v[129:130], v[108:109]
	s_delay_alu instid0(VALU_DEP_2) | instskip(NEXT) | instid1(VALU_DEP_2)
	v_fma_f64 v[102:103], v[129:130], v[106:107], -v[102:103]
	v_fma_f64 v[104:105], v[131:132], v[106:107], v[104:105]
	s_clause 0x1
	global_load_b128 v[106:109], v28, s[6:7] offset:768
	global_load_b128 v[129:132], v28, s[6:7] offset:864
	ds_load_b128 v[133:136], v100 offset:768
	ds_load_b128 v[137:140], v100 offset:864
	s_waitcnt vmcnt(1) lgkmcnt(1)
	v_mul_f64 v[110:111], v[135:136], v[108:109]
	v_mul_f64 v[141:142], v[133:134], v[108:109]
	s_delay_alu instid0(VALU_DEP_2) | instskip(NEXT) | instid1(VALU_DEP_2)
	v_fma_f64 v[108:109], v[133:134], v[106:107], -v[110:111]
	v_fma_f64 v[110:111], v[135:136], v[106:107], v[141:142]
	s_waitcnt vmcnt(0) lgkmcnt(0)
	v_mul_f64 v[106:107], v[139:140], v[131:132]
	v_mul_f64 v[133:134], v[137:138], v[131:132]
	s_delay_alu instid0(VALU_DEP_2) | instskip(NEXT) | instid1(VALU_DEP_2)
	v_fma_f64 v[131:132], v[137:138], v[129:130], -v[106:107]
	v_fma_f64 v[133:134], v[139:140], v[129:130], v[133:134]
	s_clause 0x1
	global_load_b128 v[135:138], v28, s[6:7] offset:960
	global_load_b128 v[139:142], v28, s[6:7] offset:1056
	;; [unrolled: 17-line block ×4, first 2 shown]
	ds_load_b128 v[159:162], v100 offset:1344
	ds_load_b128 v[163:166], v100 offset:1440
	s_waitcnt vmcnt(1) lgkmcnt(1)
	v_mul_f64 v[106:107], v[161:162], v[149:150]
	v_mul_f64 v[129:130], v[159:160], v[149:150]
	s_delay_alu instid0(VALU_DEP_2) | instskip(NEXT) | instid1(VALU_DEP_2)
	v_fma_f64 v[159:160], v[159:160], v[147:148], -v[106:107]
	v_fma_f64 v[161:162], v[161:162], v[147:148], v[129:130]
	s_waitcnt vmcnt(0) lgkmcnt(0)
	v_mul_f64 v[106:107], v[165:166], v[157:158]
	v_mul_f64 v[129:130], v[163:164], v[157:158]
	s_delay_alu instid0(VALU_DEP_2) | instskip(NEXT) | instid1(VALU_DEP_2)
	v_fma_f64 v[147:148], v[163:164], v[155:156], -v[106:107]
	v_fma_f64 v[149:150], v[165:166], v[155:156], v[129:130]
	global_load_b128 v[155:158], v28, s[6:7] offset:1536
	ds_load_b128 v[163:166], v100 offset:1536
	s_waitcnt vmcnt(0) lgkmcnt(0)
	v_mul_f64 v[106:107], v[165:166], v[157:158]
	v_mul_f64 v[129:130], v[163:164], v[157:158]
	s_delay_alu instid0(VALU_DEP_2) | instskip(NEXT) | instid1(VALU_DEP_2)
	v_fma_f64 v[163:164], v[163:164], v[155:156], -v[106:107]
	v_fma_f64 v[165:166], v[165:166], v[155:156], v[129:130]
	ds_store_b128 v100, v[113:116]
	ds_store_b128 v100, v[117:120] offset:96
	ds_store_b128 v100, v[92:95] offset:192
	;; [unrolled: 1-line block ×16, first 2 shown]
.LBB0_9:
	s_or_b32 exec_lo, exec_lo, s8
	s_waitcnt lgkmcnt(0)
	s_barrier
	buffer_gl0_inv
	s_and_saveexec_b32 s6, vcc_lo
	s_cbranch_execz .LBB0_11
; %bb.10:
	ds_load_b128 v[64:67], v100
	ds_load_b128 v[68:71], v100 offset:96
	ds_load_b128 v[72:75], v100 offset:192
	;; [unrolled: 1-line block ×16, first 2 shown]
.LBB0_11:
	s_or_b32 exec_lo, exec_lo, s6
	s_waitcnt lgkmcnt(0)
	s_barrier
	buffer_gl0_inv
	s_and_saveexec_b32 s33, vcc_lo
	s_cbranch_execz .LBB0_13
; %bb.12:
	v_add_f64 v[90:91], v[68:69], v[64:65]
	v_add_f64 v[88:89], v[70:71], v[66:67]
	v_add_f64 v[92:93], v[58:59], -v[62:63]
	s_mov_b32 s24, 0x6c9a05f6
	s_mov_b32 s25, 0xbfe9895b
	;; [unrolled: 1-line block ×35, first 2 shown]
	v_add_f64 v[90:91], v[72:73], v[90:91]
	v_add_f64 v[88:89], v[74:75], v[88:89]
	s_mov_b32 s9, 0xbfeb34fa
	s_mov_b32 s7, 0xbfef7484
	;; [unrolled: 1-line block ×3, first 2 shown]
	v_mul_f64 v[175:176], v[92:93], s[26:27]
	s_mov_b32 s50, s24
	s_mov_b32 s53, 0x3feec746
	;; [unrolled: 1-line block ×3, first 2 shown]
	v_mul_f64 v[177:178], v[92:93], s[44:45]
	v_mul_f64 v[206:207], v[92:93], s[30:31]
	;; [unrolled: 1-line block ×3, first 2 shown]
	v_mov_b32_e32 v101, v196
	v_mov_b32_e32 v201, v255
	v_mul_f64 v[179:180], v[92:93], s[38:39]
	v_mul_f64 v[195:196], v[92:93], s[34:35]
	v_add_f64 v[90:91], v[76:77], v[90:91]
	v_add_f64 v[88:89], v[78:79], v[88:89]
	s_delay_alu instid0(VALU_DEP_2) | instskip(NEXT) | instid1(VALU_DEP_2)
	v_add_f64 v[90:91], v[80:81], v[90:91]
	v_add_f64 v[88:89], v[82:83], v[88:89]
	s_delay_alu instid0(VALU_DEP_2) | instskip(NEXT) | instid1(VALU_DEP_2)
	;; [unrolled: 3-line block ×5, first 2 shown]
	v_add_f64 v[96:97], v[56:57], v[90:91]
	v_add_f64 v[94:95], v[58:59], v[88:89]
	v_add_f64 v[90:91], v[56:57], -v[60:61]
	v_add_f64 v[56:57], v[56:57], v[60:61]
	v_add_f64 v[88:89], v[58:59], v[62:63]
	;; [unrolled: 1-line block ×5, first 2 shown]
	v_add_f64 v[60:61], v[48:49], -v[52:53]
	v_add_f64 v[48:49], v[48:49], v[52:53]
	v_add_f64 v[62:63], v[50:51], -v[54:55]
	v_add_f64 v[50:51], v[22:23], v[26:27]
	v_mul_f64 v[173:174], v[90:91], s[26:27]
	v_mul_f64 v[204:205], v[90:91], s[30:31]
	;; [unrolled: 1-line block ×4, first 2 shown]
	v_add_f64 v[52:53], v[52:53], v[96:97]
	v_add_f64 v[98:99], v[94:95], v[54:55]
	v_add_f64 v[94:95], v[22:23], -v[26:27]
	v_add_f64 v[54:55], v[20:21], -v[24:25]
	v_add_f64 v[20:21], v[20:21], v[24:25]
	v_add_f64 v[96:97], v[84:85], -v[16:17]
	v_add_f64 v[22:23], v[84:85], v[16:17]
	v_add_f64 v[84:85], v[86:87], -v[18:19]
	v_mul_f64 v[202:203], v[62:63], s[38:39]
	v_mul_f64 v[228:229], v[60:61], s[44:45]
	;; [unrolled: 1-line block ×7, first 2 shown]
	v_add_f64 v[52:53], v[24:25], v[52:53]
	v_add_f64 v[26:27], v[98:99], v[26:27]
	;; [unrolled: 1-line block ×3, first 2 shown]
	v_add_f64 v[86:87], v[80:81], -v[12:13]
	v_add_f64 v[98:99], v[72:73], -v[4:5]
	v_add_f64 v[72:73], v[72:73], v[4:5]
	v_mul_f64 v[30:31], v[96:97], s[46:47]
	v_mul_f64 v[224:225], v[54:55], s[52:53]
	v_mul_f64 v[226:227], v[94:95], s[52:53]
	v_mul_f64 v[246:247], v[96:97], s[34:35]
	v_mul_f64 v[248:249], v[84:85], s[34:35]
	v_mul_f64 v[250:251], v[54:55], s[28:29]
	v_mul_f64 v[252:253], v[94:95], s[28:29]
	v_mul_f64 v[187:188], v[84:85], s[36:37]
	v_mul_f64 v[189:190], v[54:55], s[38:39]
	v_add_f64 v[52:53], v[52:53], v[16:17]
	v_add_f64 v[26:27], v[26:27], v[18:19]
	;; [unrolled: 1-line block ×4, first 2 shown]
	v_add_f64 v[80:81], v[82:83], -v[14:15]
	v_add_f64 v[82:83], v[76:77], -v[8:9]
	v_mul_f64 v[155:156], v[98:99], s[48:49]
	v_mul_f64 v[208:209], v[98:99], s[42:43]
	;; [unrolled: 1-line block ×5, first 2 shown]
	v_add_f64 v[12:13], v[52:53], v[12:13]
	v_add_f64 v[14:15], v[26:27], v[14:15]
	;; [unrolled: 1-line block ×4, first 2 shown]
	v_add_f64 v[76:77], v[78:79], -v[10:11]
	v_add_f64 v[78:79], v[74:75], -v[6:7]
	v_add_f64 v[74:75], v[74:75], v[6:7]
	v_mul_f64 v[212:213], v[82:83], s[24:25]
	v_mul_f64 v[218:219], v[80:81], s[30:31]
	;; [unrolled: 1-line block ×4, first 2 shown]
	v_add_f64 v[8:9], v[12:13], v[8:9]
	v_add_f64 v[10:11], v[14:15], v[10:11]
	;; [unrolled: 1-line block ×4, first 2 shown]
	v_mul_f64 v[214:215], v[76:77], s[24:25]
	v_mul_f64 v[210:211], v[78:79], s[42:43]
	;; [unrolled: 1-line block ×4, first 2 shown]
	v_add_f64 v[4:5], v[8:9], v[4:5]
	v_add_f64 v[8:9], v[68:69], -v[0:1]
	v_add_f64 v[6:7], v[10:11], v[6:7]
	v_add_f64 v[10:11], v[70:71], -v[2:3]
	s_delay_alu instid0(VALU_DEP_4) | instskip(NEXT) | instid1(VALU_DEP_4)
	v_add_f64 v[0:1], v[4:5], v[0:1]
	v_mul_f64 v[68:69], v[8:9], s[24:25]
	s_delay_alu instid0(VALU_DEP_4) | instskip(NEXT) | instid1(VALU_DEP_4)
	v_add_f64 v[2:3], v[6:7], v[2:3]
	v_mul_f64 v[127:128], v[10:11], s[24:25]
	v_mul_f64 v[70:71], v[8:9], s[46:47]
	v_mul_f64 v[129:130], v[10:11], s[46:47]
	v_mul_f64 v[102:103], v[8:9], s[42:43]
	v_mul_f64 v[131:132], v[10:11], s[42:43]
	v_mul_f64 v[104:105], v[8:9], s[36:37]
	v_mul_f64 v[133:134], v[10:11], s[36:37]
	v_mul_f64 v[106:107], v[8:9], s[48:49]
	v_mul_f64 v[135:136], v[10:11], s[48:49]
	v_mul_f64 v[4:5], v[8:9], s[30:31]
	v_mul_f64 v[6:7], v[8:9], s[38:39]
	v_mul_f64 v[8:9], v[8:9], s[28:29]
	v_mul_f64 v[125:126], v[10:11], s[38:39]
	v_fma_f64 v[113:114], v[12:13], s[10:11], v[68:69]
	v_fma_f64 v[68:69], v[12:13], s[10:11], -v[68:69]
	scratch_store_b128 off, v[0:3], off offset:28 ; 16-byte Folded Spill
	v_fma_f64 v[141:142], v[14:15], s[10:11], -v[127:128]
	v_fma_f64 v[127:128], v[14:15], s[10:11], v[127:128]
	v_fma_f64 v[115:116], v[12:13], s[14:15], v[70:71]
	v_fma_f64 v[143:144], v[14:15], s[14:15], -v[129:130]
	v_fma_f64 v[117:118], v[12:13], s[16:17], v[102:103]
	v_fma_f64 v[145:146], v[14:15], s[16:17], -v[131:132]
	v_fma_f64 v[119:120], v[12:13], s[18:19], -v[104:105]
	v_fma_f64 v[104:105], v[12:13], s[18:19], v[104:105]
	v_fma_f64 v[147:148], v[14:15], s[18:19], v[133:134]
	v_fma_f64 v[133:134], v[14:15], s[18:19], -v[133:134]
	v_fma_f64 v[121:122], v[12:13], s[20:21], -v[106:107]
	v_fma_f64 v[106:107], v[12:13], s[20:21], v[106:107]
	v_fma_f64 v[149:150], v[14:15], s[20:21], v[135:136]
	v_fma_f64 v[135:136], v[14:15], s[20:21], -v[135:136]
	v_fma_f64 v[108:109], v[12:13], s[6:7], v[4:5]
	v_fma_f64 v[4:5], v[12:13], s[6:7], -v[4:5]
	;; [unrolled: 2-line block ×3, first 2 shown]
	v_fma_f64 v[70:71], v[12:13], s[14:15], -v[70:71]
	v_fma_f64 v[102:103], v[12:13], s[16:17], -v[102:103]
	;; [unrolled: 1-line block ×3, first 2 shown]
	v_fma_f64 v[8:9], v[12:13], s[22:23], v[8:9]
	v_mul_f64 v[12:13], v[10:11], s[30:31]
	v_mul_f64 v[10:11], v[10:11], s[28:29]
	v_fma_f64 v[139:140], v[14:15], s[8:9], -v[125:126]
	v_fma_f64 v[125:126], v[14:15], s[8:9], v[125:126]
	v_fma_f64 v[129:130], v[14:15], s[14:15], v[129:130]
	;; [unrolled: 1-line block ×3, first 2 shown]
	v_add_f64 v[113:114], v[66:67], v[113:114]
	v_add_f64 v[0:1], v[66:67], v[68:69]
	;; [unrolled: 1-line block ×7, first 2 shown]
	v_fma_f64 v[137:138], v[14:15], s[6:7], -v[12:13]
	v_fma_f64 v[12:13], v[14:15], s[6:7], v[12:13]
	v_fma_f64 v[151:152], v[14:15], s[22:23], v[10:11]
	v_fma_f64 v[10:11], v[14:15], s[22:23], -v[10:11]
	v_add_f64 v[14:15], v[66:67], v[108:109]
	v_add_f64 v[139:140], v[64:65], v[139:140]
	;; [unrolled: 1-line block ×4, first 2 shown]
	v_mul_f64 v[131:132], v[76:77], s[36:37]
	v_add_f64 v[161:162], v[64:65], v[129:130]
	v_mul_f64 v[129:130], v[86:87], s[42:43]
	scratch_store_b64 off, v[0:1], off offset:164 ; 8-byte Folded Spill
	v_add_f64 v[0:1], v[64:65], v[127:128]
	v_add_f64 v[127:128], v[66:67], v[102:103]
	;; [unrolled: 1-line block ×6, first 2 shown]
	scratch_store_b64 off, v[0:1], off offset:156 ; 8-byte Folded Spill
	v_add_f64 v[0:1], v[66:67], v[115:116]
	v_add_f64 v[115:116], v[66:67], v[123:124]
	;; [unrolled: 1-line block ×3, first 2 shown]
	v_mul_f64 v[147:148], v[90:91], s[34:35]
	scratch_store_b64 off, v[0:1], off offset:148 ; 8-byte Folded Spill
	v_add_f64 v[0:1], v[64:65], v[143:144]
	v_mul_f64 v[143:144], v[82:83], s[36:37]
	scratch_store_b64 off, v[0:1], off offset:140 ; 8-byte Folded Spill
	v_add_f64 v[0:1], v[66:67], v[117:118]
	v_add_f64 v[117:118], v[66:67], v[121:122]
	;; [unrolled: 1-line block ×3, first 2 shown]
	scratch_store_b64 off, v[0:1], off offset:132 ; 8-byte Folded Spill
	v_add_f64 v[0:1], v[64:65], v[145:146]
	v_mul_f64 v[145:146], v[78:79], s[48:49]
	scratch_store_b64 off, v[0:1], off offset:124 ; 8-byte Folded Spill
	v_add_f64 v[0:1], v[66:67], v[104:105]
	scratch_store_b64 off, v[0:1], off offset:116 ; 8-byte Folded Spill
	v_add_f64 v[0:1], v[64:65], v[133:134]
	v_mul_f64 v[133:134], v[94:95], s[38:39]
	scratch_store_b64 off, v[0:1], off offset:108 ; 8-byte Folded Spill
	v_add_f64 v[0:1], v[66:67], v[106:107]
	scratch_store_b64 off, v[0:1], off offset:100 ; 8-byte Folded Spill
	v_add_f64 v[0:1], v[64:65], v[135:136]
	;; [unrolled: 2-line block ×3, first 2 shown]
	v_mul_f64 v[8:9], v[98:99], s[40:41]
	v_fma_f64 v[66:67], v[16:17], s[22:23], v[185:186]
	scratch_store_b64 off, v[0:1], off offset:84 ; 8-byte Folded Spill
	v_fma_f64 v[4:5], v[74:75], s[22:23], v[8:9]
	v_add_f64 v[0:1], v[64:65], v[10:11]
	v_mul_f64 v[10:11], v[78:79], s[40:41]
	v_fma_f64 v[8:9], v[74:75], s[22:23], -v[8:9]
	v_mul_f64 v[64:65], v[80:81], s[42:43]
	v_add_f64 v[4:5], v[4:5], v[14:15]
	v_mul_f64 v[14:15], v[82:83], s[38:39]
	v_fma_f64 v[6:7], v[72:73], s[22:23], -v[10:11]
	v_fma_f64 v[10:11], v[72:73], s[22:23], v[10:11]
	v_add_f64 v[8:9], v[8:9], v[137:138]
	scratch_store_b64 off, v[0:1], off offset:76 ; 8-byte Folded Spill
	v_fma_f64 v[102:103], v[52:53], s[8:9], v[14:15]
	v_add_f64 v[6:7], v[6:7], v[108:109]
	v_add_f64 v[10:11], v[10:11], v[12:13]
	v_fma_f64 v[12:13], v[52:53], s[8:9], -v[14:15]
	v_fma_f64 v[14:15], v[56:57], s[16:17], v[175:176]
	v_add_f64 v[4:5], v[102:103], v[4:5]
	v_mul_f64 v[102:103], v[76:77], s[38:39]
	s_delay_alu instid0(VALU_DEP_4) | instskip(NEXT) | instid1(VALU_DEP_2)
	v_add_f64 v[8:9], v[12:13], v[8:9]
	v_fma_f64 v[104:105], v[26:27], s[8:9], -v[102:103]
	v_fma_f64 v[12:13], v[26:27], s[8:9], v[102:103]
	v_mul_f64 v[102:103], v[98:99], s[44:45]
	s_delay_alu instid0(VALU_DEP_3) | instskip(SKIP_1) | instid1(VALU_DEP_4)
	v_add_f64 v[6:7], v[104:105], v[6:7]
	v_mul_f64 v[104:105], v[86:87], s[34:35]
	v_add_f64 v[10:11], v[12:13], v[10:11]
	s_delay_alu instid0(VALU_DEP_2) | instskip(SKIP_2) | instid1(VALU_DEP_3)
	v_fma_f64 v[106:107], v[18:19], s[20:21], v[104:105]
	v_fma_f64 v[12:13], v[18:19], s[20:21], -v[104:105]
	v_mul_f64 v[104:105], v[78:79], s[44:45]
	v_add_f64 v[4:5], v[106:107], v[4:5]
	v_mul_f64 v[106:107], v[80:81], s[34:35]
	s_delay_alu instid0(VALU_DEP_4) | instskip(NEXT) | instid1(VALU_DEP_2)
	v_add_f64 v[8:9], v[12:13], v[8:9]
	v_fma_f64 v[108:109], v[16:17], s[20:21], -v[106:107]
	v_fma_f64 v[12:13], v[16:17], s[20:21], v[106:107]
	v_mul_f64 v[106:107], v[82:83], s[42:43]
	s_delay_alu instid0(VALU_DEP_3) | instskip(SKIP_1) | instid1(VALU_DEP_4)
	v_add_f64 v[6:7], v[108:109], v[6:7]
	v_mul_f64 v[108:109], v[96:97], s[24:25]
	v_add_f64 v[10:11], v[12:13], v[10:11]
	s_delay_alu instid0(VALU_DEP_2) | instskip(SKIP_3) | instid1(VALU_DEP_4)
	v_fma_f64 v[135:136], v[24:25], s[10:11], v[108:109]
	v_fma_f64 v[12:13], v[24:25], s[10:11], -v[108:109]
	v_fma_f64 v[108:109], v[52:53], s[16:17], v[106:107]
	v_fma_f64 v[106:107], v[52:53], s[16:17], -v[106:107]
	v_add_f64 v[4:5], v[135:136], v[4:5]
	v_mul_f64 v[135:136], v[84:85], s[24:25]
	v_add_f64 v[8:9], v[12:13], v[8:9]
	s_delay_alu instid0(VALU_DEP_2) | instskip(SKIP_1) | instid1(VALU_DEP_2)
	v_fma_f64 v[149:150], v[22:23], s[10:11], -v[135:136]
	v_fma_f64 v[12:13], v[22:23], s[10:11], v[135:136]
	v_add_f64 v[6:7], v[149:150], v[6:7]
	v_mul_f64 v[149:150], v[54:55], s[44:45]
	s_delay_alu instid0(VALU_DEP_3) | instskip(NEXT) | instid1(VALU_DEP_2)
	v_add_f64 v[10:11], v[12:13], v[10:11]
	v_fma_f64 v[151:152], v[50:51], s[18:19], v[149:150]
	v_fma_f64 v[12:13], v[50:51], s[18:19], -v[149:150]
	s_delay_alu instid0(VALU_DEP_2) | instskip(SKIP_1) | instid1(VALU_DEP_3)
	v_add_f64 v[4:5], v[151:152], v[4:5]
	v_mul_f64 v[151:152], v[94:95], s[44:45]
	v_add_f64 v[8:9], v[12:13], v[8:9]
	s_delay_alu instid0(VALU_DEP_2) | instskip(SKIP_1) | instid1(VALU_DEP_2)
	v_fma_f64 v[167:168], v[20:21], s[18:19], -v[151:152]
	v_fma_f64 v[12:13], v[20:21], s[18:19], v[151:152]
	v_add_f64 v[6:7], v[167:168], v[6:7]
	v_mul_f64 v[167:168], v[60:61], s[46:47]
	s_delay_alu instid0(VALU_DEP_3) | instskip(NEXT) | instid1(VALU_DEP_2)
	v_add_f64 v[10:11], v[12:13], v[10:11]
	v_fma_f64 v[169:170], v[58:59], s[14:15], v[167:168]
	v_fma_f64 v[12:13], v[58:59], s[14:15], -v[167:168]
	s_delay_alu instid0(VALU_DEP_2) | instskip(SKIP_1) | instid1(VALU_DEP_3)
	v_add_f64 v[4:5], v[169:170], v[4:5]
	v_mul_f64 v[169:170], v[62:63], s[46:47]
	v_add_f64 v[8:9], v[12:13], v[8:9]
	s_delay_alu instid0(VALU_DEP_2) | instskip(SKIP_1) | instid1(VALU_DEP_2)
	v_fma_f64 v[171:172], v[48:49], s[14:15], -v[169:170]
	v_fma_f64 v[12:13], v[48:49], s[14:15], v[169:170]
	v_add_f64 v[171:172], v[171:172], v[6:7]
	v_fma_f64 v[6:7], v[88:89], s[16:17], v[173:174]
	s_delay_alu instid0(VALU_DEP_3) | instskip(SKIP_2) | instid1(VALU_DEP_4)
	v_add_f64 v[12:13], v[12:13], v[10:11]
	v_fma_f64 v[10:11], v[88:89], s[16:17], -v[173:174]
	v_mul_f64 v[173:174], v[90:91], s[46:47]
	v_add_f64 v[2:3], v[6:7], v[4:5]
	v_fma_f64 v[4:5], v[56:57], s[16:17], -v[175:176]
	v_mul_f64 v[175:176], v[92:93], s[46:47]
	v_fma_f64 v[6:7], v[56:57], s[8:9], v[179:180]
	v_mul_f64 v[92:93], v[92:93], s[24:25]
	s_delay_alu instid0(VALU_DEP_4)
	v_add_f64 v[0:1], v[4:5], v[171:172]
	v_mul_f64 v[4:5], v[94:95], s[24:25]
	scratch_store_b128 off, v[0:3], off offset:44 ; 16-byte Folded Spill
	v_add_f64 v[0:1], v[14:15], v[12:13]
	v_fma_f64 v[12:13], v[74:75], s[18:19], v[102:103]
	v_fma_f64 v[14:15], v[72:73], s[18:19], -v[104:105]
	v_fma_f64 v[102:103], v[74:75], s[18:19], -v[102:103]
	v_fma_f64 v[104:105], v[72:73], s[18:19], v[104:105]
	v_add_f64 v[2:3], v[10:11], v[8:9]
	v_mul_f64 v[8:9], v[54:55], s[24:25]
	v_fma_f64 v[10:11], v[72:73], s[6:7], v[181:182]
	v_add_f64 v[12:13], v[12:13], v[110:111]
	v_add_f64 v[14:15], v[14:15], v[139:140]
	;; [unrolled: 1-line block ×4, first 2 shown]
	v_mul_f64 v[153:154], v[84:85], s[26:27]
	scratch_store_b128 off, v[0:3], off offset:60 ; 16-byte Folded Spill
	v_mul_f64 v[2:3], v[60:61], s[38:39]
	v_mul_f64 v[0:1], v[60:61], s[42:43]
	v_add_f64 v[10:11], v[10:11], v[70:71]
	v_mul_f64 v[70:71], v[82:83], s[52:53]
	v_add_f64 v[12:13], v[108:109], v[12:13]
	;; [unrolled: 2-line block ×3, first 2 shown]
	s_delay_alu instid0(VALU_DEP_2) | instskip(SKIP_2) | instid1(VALU_DEP_3)
	v_fma_f64 v[110:111], v[26:27], s[16:17], -v[108:109]
	v_fma_f64 v[106:107], v[26:27], s[16:17], v[108:109]
	v_fma_f64 v[108:109], v[56:57], s[14:15], v[175:176]
	v_add_f64 v[14:15], v[110:111], v[14:15]
	v_mul_f64 v[110:111], v[86:87], s[50:51]
	s_delay_alu instid0(VALU_DEP_4) | instskip(NEXT) | instid1(VALU_DEP_2)
	v_add_f64 v[104:105], v[106:107], v[104:105]
	v_fma_f64 v[135:136], v[18:19], s[10:11], v[110:111]
	v_fma_f64 v[106:107], v[18:19], s[10:11], -v[110:111]
	v_mul_f64 v[110:111], v[98:99], s[52:53]
	s_delay_alu instid0(VALU_DEP_3) | instskip(SKIP_1) | instid1(VALU_DEP_4)
	v_add_f64 v[12:13], v[135:136], v[12:13]
	v_mul_f64 v[135:136], v[80:81], s[50:51]
	v_add_f64 v[102:103], v[106:107], v[102:103]
	s_delay_alu instid0(VALU_DEP_2) | instskip(SKIP_2) | instid1(VALU_DEP_3)
	v_fma_f64 v[137:138], v[16:17], s[10:11], -v[135:136]
	v_fma_f64 v[106:107], v[16:17], s[10:11], v[135:136]
	v_mul_f64 v[135:136], v[78:79], s[52:53]
	v_add_f64 v[14:15], v[137:138], v[14:15]
	v_mul_f64 v[137:138], v[96:97], s[28:29]
	s_delay_alu instid0(VALU_DEP_4) | instskip(NEXT) | instid1(VALU_DEP_2)
	v_add_f64 v[104:105], v[106:107], v[104:105]
	v_fma_f64 v[139:140], v[24:25], s[22:23], v[137:138]
	v_fma_f64 v[106:107], v[24:25], s[22:23], -v[137:138]
	v_mul_f64 v[137:138], v[82:83], s[28:29]
	s_delay_alu instid0(VALU_DEP_3) | instskip(SKIP_1) | instid1(VALU_DEP_4)
	v_add_f64 v[12:13], v[139:140], v[12:13]
	v_mul_f64 v[139:140], v[84:85], s[28:29]
	v_add_f64 v[102:103], v[106:107], v[102:103]
	s_delay_alu instid0(VALU_DEP_2) | instskip(SKIP_2) | instid1(VALU_DEP_3)
	v_fma_f64 v[149:150], v[22:23], s[22:23], -v[139:140]
	v_fma_f64 v[106:107], v[22:23], s[22:23], v[139:140]
	v_mul_f64 v[139:140], v[76:77], s[28:29]
	v_add_f64 v[14:15], v[149:150], v[14:15]
	v_mul_f64 v[149:150], v[54:55], s[30:31]
	s_delay_alu instid0(VALU_DEP_4) | instskip(NEXT) | instid1(VALU_DEP_2)
	v_add_f64 v[104:105], v[106:107], v[104:105]
	v_fma_f64 v[151:152], v[50:51], s[6:7], v[149:150]
	v_fma_f64 v[106:107], v[50:51], s[6:7], -v[149:150]
	v_mul_f64 v[149:150], v[80:81], s[38:39]
	v_mul_f64 v[80:81], v[80:81], s[36:37]
	s_delay_alu instid0(VALU_DEP_4) | instskip(SKIP_2) | instid1(VALU_DEP_2)
	v_add_f64 v[12:13], v[151:152], v[12:13]
	v_mul_f64 v[151:152], v[94:95], s[30:31]
	v_add_f64 v[102:103], v[106:107], v[102:103]
	v_fma_f64 v[167:168], v[20:21], s[6:7], -v[151:152]
	v_fma_f64 v[106:107], v[20:21], s[6:7], v[151:152]
	v_mul_f64 v[151:152], v[96:97], s[26:27]
	s_delay_alu instid0(VALU_DEP_3) | instskip(SKIP_1) | instid1(VALU_DEP_4)
	v_add_f64 v[14:15], v[167:168], v[14:15]
	v_mul_f64 v[167:168], v[60:61], s[34:35]
	v_add_f64 v[104:105], v[106:107], v[104:105]
	s_delay_alu instid0(VALU_DEP_2) | instskip(SKIP_3) | instid1(VALU_DEP_4)
	v_fma_f64 v[169:170], v[58:59], s[20:21], v[167:168]
	v_fma_f64 v[106:107], v[58:59], s[20:21], -v[167:168]
	v_mul_f64 v[167:168], v[54:55], s[48:49]
	v_mul_f64 v[54:55], v[54:55], s[26:27]
	v_add_f64 v[12:13], v[169:170], v[12:13]
	v_mul_f64 v[169:170], v[62:63], s[34:35]
	v_add_f64 v[102:103], v[106:107], v[102:103]
	s_delay_alu instid0(VALU_DEP_2) | instskip(SKIP_3) | instid1(VALU_DEP_4)
	v_fma_f64 v[106:107], v[48:49], s[20:21], v[169:170]
	v_fma_f64 v[171:172], v[48:49], s[20:21], -v[169:170]
	v_mul_f64 v[169:170], v[94:95], s[48:49]
	v_mul_f64 v[94:95], v[94:95], s[26:27]
	v_add_f64 v[106:107], v[106:107], v[104:105]
	v_fma_f64 v[104:105], v[88:89], s[14:15], -v[173:174]
	v_add_f64 v[171:172], v[171:172], v[14:15]
	v_fma_f64 v[14:15], v[88:89], s[14:15], v[173:174]
	v_mul_f64 v[173:174], v[62:63], s[30:31]
	s_delay_alu instid0(VALU_DEP_4)
	v_add_f64 v[104:105], v[104:105], v[102:103]
	v_add_f64 v[102:103], v[108:109], v[106:107]
	v_fma_f64 v[106:107], v[74:75], s[14:15], v[110:111]
	v_fma_f64 v[108:109], v[72:73], s[14:15], -v[135:136]
	v_add_f64 v[159:160], v[14:15], v[12:13]
	v_fma_f64 v[12:13], v[56:57], s[14:15], -v[175:176]
	v_mul_f64 v[175:176], v[90:91], s[44:45]
	s_mov_b32 s45, 0x3fc7851a
	s_mov_b32 s44, s30
	v_fma_f64 v[14:15], v[26:27], s[14:15], v[183:184]
	v_mul_f64 v[238:239], v[82:83], s[44:45]
	v_mul_f64 v[240:241], v[76:77], s[44:45]
	;; [unrolled: 1-line block ×4, first 2 shown]
	v_add_f64 v[106:107], v[106:107], v[113:114]
	v_fma_f64 v[113:114], v[52:53], s[22:23], v[137:138]
	v_add_f64 v[108:109], v[108:109], v[141:142]
	v_mul_f64 v[141:142], v[86:87], s[38:39]
	v_add_f64 v[157:158], v[12:13], v[171:172]
	v_mul_f64 v[171:172], v[60:61], s[30:31]
	v_mul_f64 v[12:13], v[84:85], s[46:47]
	s_mov_b32 s47, 0x3fe0d888
	s_mov_b32 s46, s38
	v_add_f64 v[10:11], v[14:15], v[10:11]
	v_mul_f64 v[220:221], v[96:97], s[46:47]
	v_mul_f64 v[222:223], v[84:85], s[46:47]
	;; [unrolled: 1-line block ×5, first 2 shown]
	v_fma_f64 v[60:61], v[58:59], s[22:23], -v[163:164]
	v_add_f64 v[106:107], v[113:114], v[106:107]
	v_fma_f64 v[113:114], v[26:27], s[22:23], -v[139:140]
	v_add_f64 v[10:11], v[66:67], v[10:11]
	v_mul_f64 v[66:67], v[96:97], s[36:37]
	v_mul_f64 v[96:97], v[96:97], s[30:31]
	s_delay_alu instid0(VALU_DEP_4) | instskip(SKIP_1) | instid1(VALU_DEP_1)
	v_add_f64 v[108:109], v[113:114], v[108:109]
	v_fma_f64 v[113:114], v[18:19], s[8:9], v[141:142]
	v_add_f64 v[106:107], v[113:114], v[106:107]
	v_fma_f64 v[113:114], v[16:17], s[8:9], -v[149:150]
	s_delay_alu instid0(VALU_DEP_1) | instskip(SKIP_1) | instid1(VALU_DEP_1)
	v_add_f64 v[108:109], v[113:114], v[108:109]
	v_fma_f64 v[113:114], v[24:25], s[16:17], v[151:152]
	v_add_f64 v[106:107], v[113:114], v[106:107]
	v_fma_f64 v[113:114], v[22:23], s[16:17], -v[153:154]
	s_delay_alu instid0(VALU_DEP_1) | instskip(SKIP_1) | instid1(VALU_DEP_1)
	;; [unrolled: 5-line block ×5, first 2 shown]
	v_add_f64 v[106:107], v[106:107], v[113:114]
	v_fma_f64 v[113:114], v[74:75], s[20:21], -v[155:156]
	v_add_f64 v[113:114], v[113:114], v[115:116]
	v_fma_f64 v[115:116], v[72:73], s[20:21], v[145:146]
	s_delay_alu instid0(VALU_DEP_1) | instskip(SKIP_1) | instid1(VALU_DEP_1)
	v_add_f64 v[115:116], v[115:116], v[119:120]
	v_fma_f64 v[119:120], v[52:53], s[18:19], -v[143:144]
	v_add_f64 v[113:114], v[119:120], v[113:114]
	v_fma_f64 v[119:120], v[26:27], s[18:19], v[131:132]
	s_delay_alu instid0(VALU_DEP_1) | instskip(SKIP_1) | instid1(VALU_DEP_1)
	;; [unrolled: 5-line block ×3, first 2 shown]
	v_add_f64 v[115:116], v[119:120], v[115:116]
	v_fma_f64 v[119:120], v[24:25], s[14:15], -v[30:31]
	v_add_f64 v[113:114], v[119:120], v[113:114]
	v_fma_f64 v[119:120], v[22:23], s[14:15], v[12:13]
	v_fma_f64 v[12:13], v[22:23], s[14:15], -v[12:13]
	s_delay_alu instid0(VALU_DEP_2) | instskip(SKIP_2) | instid1(VALU_DEP_2)
	v_add_f64 v[115:116], v[119:120], v[115:116]
	v_fma_f64 v[119:120], v[50:51], s[10:11], -v[8:9]
	v_fma_f64 v[8:9], v[50:51], s[10:11], v[8:9]
	v_add_f64 v[113:114], v[119:120], v[113:114]
	v_fma_f64 v[119:120], v[20:21], s[10:11], v[4:5]
	v_fma_f64 v[4:5], v[20:21], s[10:11], -v[4:5]
	s_delay_alu instid0(VALU_DEP_2) | instskip(SKIP_2) | instid1(VALU_DEP_2)
	v_add_f64 v[115:116], v[119:120], v[115:116]
	v_fma_f64 v[119:120], v[58:59], s[8:9], -v[2:3]
	v_fma_f64 v[2:3], v[58:59], s[8:9], v[2:3]
	v_add_f64 v[113:114], v[119:120], v[113:114]
	v_fma_f64 v[119:120], v[48:49], s[8:9], v[202:203]
	s_delay_alu instid0(VALU_DEP_1) | instskip(SKIP_1) | instid1(VALU_DEP_1)
	v_add_f64 v[119:120], v[119:120], v[115:116]
	v_fma_f64 v[115:116], v[88:89], s[6:7], -v[204:205]
	v_add_f64 v[115:116], v[115:116], v[113:114]
	v_fma_f64 v[113:114], v[56:57], s[6:7], v[206:207]
	s_delay_alu instid0(VALU_DEP_1) | instskip(SKIP_1) | instid1(VALU_DEP_1)
	v_add_f64 v[113:114], v[113:114], v[119:120]
	v_fma_f64 v[119:120], v[74:75], s[16:17], -v[208:209]
	;; [unrolled: 5-line block ×9, first 2 shown]
	v_add_f64 v[121:122], v[121:122], v[165:166]
	v_mul_f64 v[165:166], v[78:79], s[24:25]
	s_delay_alu instid0(VALU_DEP_1) | instskip(NEXT) | instid1(VALU_DEP_1)
	v_fma_f64 v[125:126], v[72:73], s[10:11], v[165:166]
	v_add_f64 v[123:124], v[125:126], v[123:124]
	v_fma_f64 v[125:126], v[52:53], s[6:7], -v[238:239]
	s_delay_alu instid0(VALU_DEP_1) | instskip(SKIP_1) | instid1(VALU_DEP_1)
	v_add_f64 v[121:122], v[125:126], v[121:122]
	v_fma_f64 v[125:126], v[26:27], s[6:7], v[240:241]
	v_add_f64 v[123:124], v[125:126], v[123:124]
	v_fma_f64 v[125:126], v[18:19], s[14:15], -v[242:243]
	s_delay_alu instid0(VALU_DEP_1) | instskip(SKIP_1) | instid1(VALU_DEP_1)
	v_add_f64 v[121:122], v[125:126], v[121:122]
	;; [unrolled: 5-line block ×4, first 2 shown]
	v_fma_f64 v[125:126], v[20:21], s[22:23], v[252:253]
	v_add_f64 v[123:124], v[125:126], v[123:124]
	v_fma_f64 v[125:126], v[58:59], s[16:17], -v[0:1]
	v_fma_f64 v[0:1], v[58:59], s[16:17], v[0:1]
	s_delay_alu instid0(VALU_DEP_2) | instskip(SKIP_1) | instid1(VALU_DEP_1)
	v_add_f64 v[121:122], v[125:126], v[121:122]
	v_fma_f64 v[125:126], v[48:49], s[16:17], v[254:255]
	v_add_f64 v[125:126], v[125:126], v[123:124]
	v_fma_f64 v[123:124], v[88:89], s[8:9], -v[28:29]
	s_delay_alu instid0(VALU_DEP_1) | instskip(NEXT) | instid1(VALU_DEP_3)
	v_add_f64 v[123:124], v[123:124], v[121:122]
	v_add_f64 v[121:122], v[6:7], v[125:126]
	v_mul_f64 v[6:7], v[98:99], s[30:31]
	s_delay_alu instid0(VALU_DEP_1) | instskip(SKIP_1) | instid1(VALU_DEP_2)
	v_fma_f64 v[125:126], v[74:75], s[6:7], -v[6:7]
	v_fma_f64 v[6:7], v[74:75], s[6:7], v[6:7]
	v_add_f64 v[125:126], v[125:126], v[127:128]
	v_fma_f64 v[127:128], v[52:53], s[14:15], -v[70:71]
	s_delay_alu instid0(VALU_DEP_1) | instskip(SKIP_1) | instid1(VALU_DEP_1)
	v_add_f64 v[125:126], v[127:128], v[125:126]
	v_fma_f64 v[127:128], v[18:19], s[22:23], -v[14:15]
	v_add_f64 v[125:126], v[127:128], v[125:126]
	v_fma_f64 v[127:128], v[24:25], s[18:19], -v[66:67]
	s_delay_alu instid0(VALU_DEP_1) | instskip(SKIP_1) | instid1(VALU_DEP_1)
	v_add_f64 v[125:126], v[127:128], v[125:126]
	v_fma_f64 v[127:128], v[22:23], s[18:19], v[187:188]
	v_add_f64 v[10:11], v[127:128], v[10:11]
	v_fma_f64 v[127:128], v[50:51], s[8:9], -v[189:190]
	s_delay_alu instid0(VALU_DEP_1) | instskip(SKIP_1) | instid1(VALU_DEP_1)
	v_add_f64 v[125:126], v[127:128], v[125:126]
	v_fma_f64 v[127:128], v[20:21], s[8:9], v[133:134]
	;; [unrolled: 5-line block ×4, first 2 shown]
	v_add_f64 v[125:126], v[125:126], v[10:11]
	v_mul_f64 v[10:11], v[98:99], s[46:47]
	s_delay_alu instid0(VALU_DEP_1) | instskip(SKIP_1) | instid1(VALU_DEP_2)
	v_fma_f64 v[98:99], v[74:75], s[8:9], -v[10:11]
	v_fma_f64 v[10:11], v[74:75], s[8:9], v[10:11]
	v_add_f64 v[68:69], v[98:99], v[68:69]
	v_mul_f64 v[98:99], v[78:79], s[46:47]
	s_delay_alu instid0(VALU_DEP_1) | instskip(SKIP_1) | instid1(VALU_DEP_2)
	v_fma_f64 v[78:79], v[72:73], s[8:9], v[98:99]
	v_fma_f64 v[98:99], v[72:73], s[8:9], -v[98:99]
	v_add_f64 v[78:79], v[78:79], v[161:162]
	v_fma_f64 v[161:162], v[52:53], s[20:21], -v[82:83]
	v_fma_f64 v[82:83], v[52:53], s[20:21], v[82:83]
	s_delay_alu instid0(VALU_DEP_2) | instskip(SKIP_1) | instid1(VALU_DEP_1)
	v_add_f64 v[68:69], v[161:162], v[68:69]
	v_mul_f64 v[161:162], v[76:77], s[34:35]
	v_fma_f64 v[76:77], v[26:27], s[20:21], v[161:162]
	s_delay_alu instid0(VALU_DEP_1) | instskip(SKIP_2) | instid1(VALU_DEP_2)
	v_add_f64 v[76:77], v[76:77], v[78:79]
	v_fma_f64 v[78:79], v[18:19], s[18:19], -v[86:87]
	v_fma_f64 v[86:87], v[18:19], s[18:19], v[86:87]
	v_add_f64 v[68:69], v[78:79], v[68:69]
	v_fma_f64 v[78:79], v[16:17], s[18:19], v[80:81]
	v_fma_f64 v[80:81], v[16:17], s[18:19], -v[80:81]
	s_delay_alu instid0(VALU_DEP_2) | instskip(SKIP_1) | instid1(VALU_DEP_1)
	v_add_f64 v[76:77], v[78:79], v[76:77]
	v_fma_f64 v[78:79], v[24:25], s[6:7], -v[96:97]
	v_add_f64 v[68:69], v[78:79], v[68:69]
	v_fma_f64 v[78:79], v[22:23], s[6:7], v[84:85]
	s_delay_alu instid0(VALU_DEP_1) | instskip(SKIP_2) | instid1(VALU_DEP_2)
	v_add_f64 v[76:77], v[78:79], v[76:77]
	v_fma_f64 v[78:79], v[50:51], s[16:17], -v[54:55]
	v_fma_f64 v[54:55], v[50:51], s[16:17], v[54:55]
	v_add_f64 v[68:69], v[78:79], v[68:69]
	v_fma_f64 v[78:79], v[20:21], s[16:17], v[94:95]
	s_delay_alu instid0(VALU_DEP_2) | instskip(SKIP_1) | instid1(VALU_DEP_3)
	v_add_f64 v[60:61], v[60:61], v[68:69]
	v_mul_f64 v[68:69], v[62:63], s[28:29]
	v_add_f64 v[76:77], v[78:79], v[76:77]
	scratch_load_b64 v[78:79], off, off offset:164 ; 8-byte Folded Reload
	v_fma_f64 v[62:63], v[48:49], s[22:23], v[68:69]
	v_fma_f64 v[68:69], v[48:49], s[22:23], -v[68:69]
	s_delay_alu instid0(VALU_DEP_2) | instskip(SKIP_1) | instid1(VALU_DEP_1)
	v_add_f64 v[76:77], v[62:63], v[76:77]
	v_fma_f64 v[62:63], v[88:89], s[10:11], -v[90:91]
	v_add_f64 v[62:63], v[62:63], v[60:61]
	v_fma_f64 v[60:61], v[56:57], s[10:11], v[92:93]
	s_delay_alu instid0(VALU_DEP_1)
	v_add_f64 v[60:61], v[60:61], v[76:77]
	v_fma_f64 v[76:77], v[74:75], s[14:15], -v[110:111]
	scratch_load_b64 v[110:111], off, off offset:156 ; 8-byte Folded Reload
	s_waitcnt vmcnt(1)
	v_add_f64 v[76:77], v[76:77], v[78:79]
	v_fma_f64 v[78:79], v[72:73], s[14:15], v[135:136]
	v_fma_f64 v[135:136], v[56:57], s[18:19], v[177:178]
	s_waitcnt vmcnt(0)
	s_delay_alu instid0(VALU_DEP_2) | instskip(SKIP_1) | instid1(VALU_DEP_1)
	v_add_f64 v[78:79], v[78:79], v[110:111]
	v_fma_f64 v[110:111], v[52:53], s[22:23], -v[137:138]
	v_add_f64 v[76:77], v[110:111], v[76:77]
	v_fma_f64 v[110:111], v[26:27], s[22:23], v[139:140]
	s_delay_alu instid0(VALU_DEP_1) | instskip(SKIP_1) | instid1(VALU_DEP_1)
	v_add_f64 v[78:79], v[110:111], v[78:79]
	v_fma_f64 v[110:111], v[18:19], s[8:9], -v[141:142]
	v_add_f64 v[76:77], v[110:111], v[76:77]
	v_fma_f64 v[110:111], v[16:17], s[8:9], v[149:150]
	s_delay_alu instid0(VALU_DEP_1) | instskip(SKIP_1) | instid1(VALU_DEP_1)
	;; [unrolled: 5-line block ×5, first 2 shown]
	v_add_f64 v[110:111], v[110:111], v[78:79]
	v_fma_f64 v[78:79], v[88:89], s[18:19], -v[175:176]
	v_add_f64 v[78:79], v[78:79], v[76:77]
	s_delay_alu instid0(VALU_DEP_3)
	v_add_f64 v[76:77], v[135:136], v[110:111]
	scratch_load_b64 v[110:111], off, off offset:148 ; 8-byte Folded Reload
	s_waitcnt vmcnt(0)
	v_add_f64 v[10:11], v[10:11], v[110:111]
	scratch_load_b64 v[110:111], off, off offset:140 ; 8-byte Folded Reload
	v_add_f64 v[10:11], v[82:83], v[10:11]
	v_fma_f64 v[82:83], v[26:27], s[20:21], -v[161:162]
	s_delay_alu instid0(VALU_DEP_2) | instskip(SKIP_2) | instid1(VALU_DEP_1)
	v_add_f64 v[10:11], v[86:87], v[10:11]
	s_waitcnt vmcnt(0)
	v_add_f64 v[98:99], v[98:99], v[110:111]
	v_add_f64 v[82:83], v[82:83], v[98:99]
	s_delay_alu instid0(VALU_DEP_1) | instskip(SKIP_1) | instid1(VALU_DEP_1)
	v_add_f64 v[80:81], v[80:81], v[82:83]
	v_fma_f64 v[82:83], v[24:25], s[6:7], v[96:97]
	v_add_f64 v[10:11], v[82:83], v[10:11]
	v_fma_f64 v[82:83], v[22:23], s[6:7], -v[84:85]
	s_delay_alu instid0(VALU_DEP_2) | instskip(NEXT) | instid1(VALU_DEP_2)
	v_add_f64 v[10:11], v[54:55], v[10:11]
	v_add_f64 v[80:81], v[82:83], v[80:81]
	v_fma_f64 v[54:55], v[20:21], s[16:17], -v[94:95]
	s_delay_alu instid0(VALU_DEP_1) | instskip(SKIP_1) | instid1(VALU_DEP_2)
	v_add_f64 v[54:55], v[54:55], v[80:81]
	v_fma_f64 v[80:81], v[58:59], s[22:23], v[163:164]
	v_add_f64 v[54:55], v[68:69], v[54:55]
	s_delay_alu instid0(VALU_DEP_2) | instskip(SKIP_2) | instid1(VALU_DEP_2)
	v_add_f64 v[10:11], v[80:81], v[10:11]
	v_fma_f64 v[68:69], v[88:89], s[10:11], v[90:91]
	v_fma_f64 v[80:81], v[56:57], s[10:11], -v[92:93]
	v_add_f64 v[82:83], v[68:69], v[10:11]
	scratch_load_b64 v[10:11], off, off offset:132 ; 8-byte Folded Reload
	v_add_f64 v[80:81], v[80:81], v[54:55]
	v_fma_f64 v[54:55], v[56:57], s[20:21], -v[195:196]
	scratch_load_b32 v195, off, off         ; 4-byte Folded Reload
	s_waitcnt vmcnt(1)
	v_add_f64 v[6:7], v[6:7], v[10:11]
	v_fma_f64 v[10:11], v[52:53], s[14:15], v[70:71]
	s_delay_alu instid0(VALU_DEP_1) | instskip(SKIP_4) | instid1(VALU_DEP_1)
	v_add_f64 v[6:7], v[10:11], v[6:7]
	v_fma_f64 v[10:11], v[18:19], s[22:23], v[14:15]
	scratch_load_b64 v[14:15], off, off offset:124 ; 8-byte Folded Reload
	v_add_f64 v[6:7], v[10:11], v[6:7]
	v_fma_f64 v[10:11], v[24:25], s[18:19], v[66:67]
	v_add_f64 v[6:7], v[10:11], v[6:7]
	v_fma_f64 v[10:11], v[50:51], s[8:9], v[189:190]
	s_delay_alu instid0(VALU_DEP_1) | instskip(SKIP_2) | instid1(VALU_DEP_1)
	v_add_f64 v[6:7], v[10:11], v[6:7]
	v_fma_f64 v[10:11], v[72:73], s[6:7], -v[181:182]
	s_waitcnt vmcnt(0)
	v_add_f64 v[10:11], v[10:11], v[14:15]
	v_fma_f64 v[14:15], v[26:27], s[14:15], -v[183:184]
	s_delay_alu instid0(VALU_DEP_1) | instskip(SKIP_1) | instid1(VALU_DEP_1)
	v_add_f64 v[10:11], v[14:15], v[10:11]
	v_fma_f64 v[14:15], v[16:17], s[22:23], -v[185:186]
	v_add_f64 v[10:11], v[14:15], v[10:11]
	v_fma_f64 v[14:15], v[22:23], s[18:19], -v[187:188]
	s_delay_alu instid0(VALU_DEP_1) | instskip(SKIP_1) | instid1(VALU_DEP_1)
	v_add_f64 v[10:11], v[14:15], v[10:11]
	v_fma_f64 v[14:15], v[20:21], s[8:9], -v[133:134]
	v_add_f64 v[10:11], v[14:15], v[10:11]
	v_fma_f64 v[14:15], v[58:59], s[10:11], v[191:192]
	s_delay_alu instid0(VALU_DEP_1) | instskip(SKIP_1) | instid1(VALU_DEP_1)
	v_add_f64 v[6:7], v[14:15], v[6:7]
	v_fma_f64 v[14:15], v[48:49], s[10:11], -v[193:194]
	v_add_f64 v[10:11], v[14:15], v[10:11]
	v_fma_f64 v[14:15], v[88:89], s[20:21], v[147:148]
	s_delay_alu instid0(VALU_DEP_2)
	v_add_f64 v[84:85], v[54:55], v[10:11]
	scratch_load_b64 v[10:11], off, off offset:116 ; 8-byte Folded Reload
	v_add_f64 v[86:87], v[14:15], v[6:7]
	scratch_load_b64 v[14:15], off, off offset:108 ; 8-byte Folded Reload
	v_fma_f64 v[6:7], v[74:75], s[10:11], v[236:237]
	s_waitcnt vmcnt(1)
	s_delay_alu instid0(VALU_DEP_1) | instskip(SKIP_2) | instid1(VALU_DEP_1)
	v_add_f64 v[6:7], v[6:7], v[10:11]
	v_fma_f64 v[10:11], v[72:73], s[10:11], -v[165:166]
	s_waitcnt vmcnt(0)
	v_add_f64 v[10:11], v[10:11], v[14:15]
	v_fma_f64 v[14:15], v[52:53], s[6:7], v[238:239]
	s_delay_alu instid0(VALU_DEP_1) | instskip(SKIP_1) | instid1(VALU_DEP_1)
	v_add_f64 v[6:7], v[14:15], v[6:7]
	v_fma_f64 v[14:15], v[26:27], s[6:7], -v[240:241]
	v_add_f64 v[10:11], v[14:15], v[10:11]
	v_fma_f64 v[14:15], v[18:19], s[14:15], v[242:243]
	s_delay_alu instid0(VALU_DEP_1) | instskip(SKIP_1) | instid1(VALU_DEP_1)
	v_add_f64 v[6:7], v[14:15], v[6:7]
	v_fma_f64 v[14:15], v[16:17], s[14:15], -v[244:245]
	;; [unrolled: 5-line block ×3, first 2 shown]
	v_add_f64 v[10:11], v[14:15], v[10:11]
	v_fma_f64 v[14:15], v[50:51], s[22:23], v[250:251]
	s_delay_alu instid0(VALU_DEP_1) | instskip(SKIP_1) | instid1(VALU_DEP_2)
	v_add_f64 v[6:7], v[14:15], v[6:7]
	v_fma_f64 v[14:15], v[20:21], s[22:23], -v[252:253]
	v_add_f64 v[0:1], v[0:1], v[6:7]
	s_delay_alu instid0(VALU_DEP_2) | instskip(SKIP_2) | instid1(VALU_DEP_2)
	v_add_f64 v[10:11], v[14:15], v[10:11]
	v_fma_f64 v[6:7], v[48:49], s[16:17], -v[254:255]
	v_fma_f64 v[14:15], v[56:57], s[8:9], -v[179:180]
	v_add_f64 v[6:7], v[6:7], v[10:11]
	v_fma_f64 v[10:11], v[88:89], s[8:9], v[28:29]
	s_delay_alu instid0(VALU_DEP_2)
	v_add_f64 v[90:91], v[14:15], v[6:7]
	scratch_load_b64 v[6:7], off, off offset:100 ; 8-byte Folded Reload
	v_add_f64 v[92:93], v[10:11], v[0:1]
	scratch_load_b64 v[10:11], off, off offset:92 ; 8-byte Folded Reload
	v_fma_f64 v[0:1], v[74:75], s[16:17], v[208:209]
	v_fma_f64 v[14:15], v[56:57], s[22:23], -v[234:235]
	s_waitcnt vmcnt(1)
	s_delay_alu instid0(VALU_DEP_2) | instskip(SKIP_2) | instid1(VALU_DEP_1)
	v_add_f64 v[0:1], v[0:1], v[6:7]
	v_fma_f64 v[6:7], v[72:73], s[16:17], -v[210:211]
	s_waitcnt vmcnt(0)
	v_add_f64 v[6:7], v[6:7], v[10:11]
	v_fma_f64 v[10:11], v[52:53], s[10:11], v[212:213]
	s_delay_alu instid0(VALU_DEP_1) | instskip(SKIP_1) | instid1(VALU_DEP_1)
	v_add_f64 v[0:1], v[10:11], v[0:1]
	v_fma_f64 v[10:11], v[26:27], s[10:11], -v[214:215]
	v_add_f64 v[6:7], v[10:11], v[6:7]
	v_fma_f64 v[10:11], v[18:19], s[6:7], v[216:217]
	v_fma_f64 v[18:19], v[18:19], s[16:17], v[129:130]
	s_delay_alu instid0(VALU_DEP_2) | instskip(SKIP_1) | instid1(VALU_DEP_1)
	v_add_f64 v[0:1], v[10:11], v[0:1]
	v_fma_f64 v[10:11], v[16:17], s[6:7], -v[218:219]
	v_add_f64 v[6:7], v[10:11], v[6:7]
	v_fma_f64 v[10:11], v[24:25], s[8:9], v[220:221]
	s_delay_alu instid0(VALU_DEP_1) | instskip(SKIP_1) | instid1(VALU_DEP_1)
	v_add_f64 v[0:1], v[10:11], v[0:1]
	v_fma_f64 v[10:11], v[22:23], s[8:9], -v[222:223]
	v_add_f64 v[6:7], v[10:11], v[6:7]
	v_fma_f64 v[10:11], v[50:51], s[14:15], v[224:225]
	s_delay_alu instid0(VALU_DEP_1) | instskip(SKIP_1) | instid1(VALU_DEP_1)
	;; [unrolled: 5-line block ×3, first 2 shown]
	v_add_f64 v[0:1], v[10:11], v[0:1]
	v_fma_f64 v[10:11], v[48:49], s[18:19], -v[230:231]
	v_add_f64 v[6:7], v[10:11], v[6:7]
	v_fma_f64 v[10:11], v[88:89], s[22:23], v[232:233]
	s_delay_alu instid0(VALU_DEP_2)
	v_add_f64 v[68:69], v[14:15], v[6:7]
	scratch_load_b64 v[14:15], off, off offset:84 ; 8-byte Folded Reload
	v_add_f64 v[70:71], v[10:11], v[0:1]
	v_fma_f64 v[0:1], v[74:75], s[20:21], v[155:156]
	v_fma_f64 v[6:7], v[72:73], s[20:21], -v[145:146]
	v_fma_f64 v[10:11], v[52:53], s[18:19], v[143:144]
	s_waitcnt vmcnt(0)
	s_delay_alu instid0(VALU_DEP_3) | instskip(SKIP_4) | instid1(VALU_DEP_2)
	v_add_f64 v[0:1], v[0:1], v[14:15]
	v_fma_f64 v[14:15], v[26:27], s[18:19], -v[131:132]
	scratch_load_b64 v[26:27], off, off offset:76 ; 8-byte Folded Reload
	v_add_f64 v[0:1], v[10:11], v[0:1]
	v_fma_f64 v[10:11], v[16:17], s[16:17], -v[64:65]
	v_add_f64 v[0:1], v[18:19], v[0:1]
	s_waitcnt vmcnt(0)
	v_add_f64 v[6:7], v[6:7], v[26:27]
	s_delay_alu instid0(VALU_DEP_1) | instskip(SKIP_1) | instid1(VALU_DEP_2)
	v_add_f64 v[6:7], v[14:15], v[6:7]
	v_fma_f64 v[14:15], v[24:25], s[14:15], v[30:31]
	v_add_f64 v[6:7], v[10:11], v[6:7]
	s_delay_alu instid0(VALU_DEP_2) | instskip(NEXT) | instid1(VALU_DEP_2)
	v_add_f64 v[0:1], v[14:15], v[0:1]
	v_add_f64 v[6:7], v[12:13], v[6:7]
	s_delay_alu instid0(VALU_DEP_2) | instskip(SKIP_1) | instid1(VALU_DEP_3)
	v_add_f64 v[0:1], v[8:9], v[0:1]
	v_fma_f64 v[8:9], v[48:49], s[8:9], -v[202:203]
	v_add_f64 v[4:5], v[4:5], v[6:7]
	v_fma_f64 v[6:7], v[88:89], s[6:7], v[204:205]
	s_delay_alu instid0(VALU_DEP_4) | instskip(SKIP_1) | instid1(VALU_DEP_4)
	v_add_f64 v[0:1], v[2:3], v[0:1]
	v_fma_f64 v[2:3], v[56:57], s[6:7], -v[206:207]
	v_add_f64 v[4:5], v[8:9], v[4:5]
	s_delay_alu instid0(VALU_DEP_3) | instskip(SKIP_4) | instid1(VALU_DEP_2)
	v_add_f64 v[18:19], v[6:7], v[0:1]
	scratch_load_b32 v1, off, off offset:4  ; 4-byte Folded Reload
	v_dual_mov_b32 v255, v201 :: v_dual_and_b32 v0, 0xffff, v101
	v_add_f64 v[16:17], v[2:3], v[4:5]
	s_waitcnt vmcnt(0)
	v_lshl_add_u32 v0, v0, 4, v1
	scratch_load_b128 v[1:4], off, off offset:28 ; 16-byte Folded Reload
	s_waitcnt vmcnt(0)
	ds_store_b128 v0, v[1:4]
	ds_store_b128 v0, v[113:116] offset:16
	ds_store_b128 v0, v[117:120] offset:32
	;; [unrolled: 1-line block ×7, first 2 shown]
	scratch_load_b128 v[1:4], off, off offset:60 ; 16-byte Folded Reload
	s_waitcnt vmcnt(0)
	ds_store_b128 v0, v[1:4] offset:128
	scratch_load_b128 v[1:4], off, off offset:44 ; 16-byte Folded Reload
	s_waitcnt vmcnt(0)
	ds_store_b128 v0, v[1:4] offset:144
	ds_store_b128 v0, v[157:160] offset:160
	;; [unrolled: 1-line block ×8, first 2 shown]
.LBB0_13:
	s_or_b32 exec_lo, exec_lo, s33
	s_waitcnt lgkmcnt(0)
	s_waitcnt_vscnt null, 0x0
	s_barrier
	buffer_gl0_inv
	ds_load_b128 v[0:3], v112 offset:816
	ds_load_b128 v[4:7], v112 offset:1360
	;; [unrolled: 1-line block ×3, first 2 shown]
	s_mov_b32 s6, 0xe8584caa
	s_mov_b32 s7, 0xbfebb67a
	;; [unrolled: 1-line block ×4, first 2 shown]
	s_waitcnt lgkmcnt(2)
	v_mul_f64 v[12:13], v[199:200], v[0:1]
	s_waitcnt lgkmcnt(1)
	v_mul_f64 v[14:15], v[46:47], v[4:5]
	s_waitcnt lgkmcnt(0)
	v_mul_f64 v[20:21], v[34:35], v[8:9]
	v_mul_f64 v[22:23], v[199:200], v[2:3]
	v_mul_f64 v[24:25], v[46:47], v[6:7]
	v_fma_f64 v[26:27], v[197:198], v[2:3], -v[12:13]
	v_fma_f64 v[6:7], v[44:45], v[6:7], -v[14:15]
	ds_load_b128 v[12:15], v112 offset:544
	ds_load_b128 v[16:19], v112 offset:1088
	v_mul_f64 v[2:3], v[34:35], v[10:11]
	v_fma_f64 v[22:23], v[197:198], v[0:1], v[22:23]
	v_fma_f64 v[4:5], v[44:45], v[4:5], v[24:25]
	v_fma_f64 v[10:11], v[32:33], v[10:11], -v[20:21]
	s_waitcnt lgkmcnt(1)
	v_mul_f64 v[28:29], v[42:43], v[14:15]
	v_mul_f64 v[30:31], v[42:43], v[12:13]
	s_waitcnt lgkmcnt(0)
	v_mul_f64 v[34:35], v[38:39], v[18:19]
	v_mul_f64 v[38:39], v[38:39], v[16:17]
	v_add_f64 v[0:1], v[26:27], v[6:7]
	v_fma_f64 v[8:9], v[32:33], v[8:9], v[2:3]
	v_add_f64 v[2:3], v[22:23], v[4:5]
	v_add_f64 v[20:21], v[22:23], -v[4:5]
	v_fma_f64 v[12:13], v[40:41], v[12:13], v[28:29]
	v_fma_f64 v[14:15], v[40:41], v[14:15], -v[30:31]
	v_fma_f64 v[16:17], v[36:37], v[16:17], v[34:35]
	v_fma_f64 v[18:19], v[36:37], v[18:19], -v[38:39]
	v_add_f64 v[30:31], v[26:27], -v[6:7]
	v_fma_f64 v[0:1], v[0:1], -0.5, v[10:11]
	v_add_f64 v[10:11], v[10:11], v[26:27]
	v_fma_f64 v[32:33], v[2:3], -0.5, v[8:9]
	v_add_f64 v[8:9], v[8:9], v[22:23]
	v_add_f64 v[24:25], v[12:13], v[16:17]
	;; [unrolled: 1-line block ×3, first 2 shown]
	v_add_f64 v[38:39], v[14:15], -v[18:19]
	v_fma_f64 v[34:35], v[20:21], s[8:9], v[0:1]
	v_fma_f64 v[20:21], v[20:21], s[6:7], v[0:1]
	ds_load_b128 v[0:3], v112
	v_add_f64 v[6:7], v[10:11], v[6:7]
	v_fma_f64 v[22:23], v[30:31], s[6:7], v[32:33]
	v_add_f64 v[4:5], v[8:9], v[4:5]
	s_waitcnt lgkmcnt(0)
	v_add_f64 v[36:37], v[0:1], v[12:13]
	v_add_f64 v[14:15], v[2:3], v[14:15]
	v_add_f64 v[12:13], v[12:13], -v[16:17]
	v_fma_f64 v[0:1], v[24:25], -0.5, v[0:1]
	v_fma_f64 v[2:3], v[28:29], -0.5, v[2:3]
	v_fma_f64 v[24:25], v[30:31], s[8:9], v[32:33]
	v_mul_f64 v[26:27], v[34:35], s[6:7]
	v_mul_f64 v[30:31], v[34:35], 0.5
	v_mul_f64 v[28:29], v[20:21], s[6:7]
	v_mul_f64 v[20:21], v[20:21], -0.5
	v_add_f64 v[16:17], v[36:37], v[16:17]
	v_add_f64 v[14:15], v[14:15], v[18:19]
	v_fma_f64 v[18:19], v[38:39], s[6:7], v[0:1]
	v_fma_f64 v[34:35], v[12:13], s[8:9], v[2:3]
	;; [unrolled: 1-line block ×4, first 2 shown]
	s_and_b32 s6, exec_lo, vcc_lo
	v_fma_f64 v[26:27], v[22:23], 0.5, v[26:27]
	v_fma_f64 v[22:23], v[22:23], s[8:9], v[30:31]
	v_fma_f64 v[28:29], v[24:25], -0.5, v[28:29]
	v_fma_f64 v[24:25], v[24:25], s[8:9], v[20:21]
	v_add_f64 v[0:1], v[16:17], v[4:5]
	v_add_f64 v[2:3], v[14:15], v[6:7]
	v_add_f64 v[6:7], v[14:15], -v[6:7]
	v_add_f64 v[4:5], v[16:17], -v[4:5]
	v_add_f64 v[8:9], v[18:19], v[26:27]
	v_add_f64 v[10:11], v[34:35], v[22:23]
	;; [unrolled: 1-line block ×4, first 2 shown]
	v_add_f64 v[16:17], v[18:19], -v[26:27]
	v_add_f64 v[18:19], v[34:35], -v[22:23]
	;; [unrolled: 1-line block ×4, first 2 shown]
	ds_store_b128 v100, v[0:3]
	ds_store_b128 v100, v[8:11] offset:272
	ds_store_b128 v100, v[12:15] offset:544
	;; [unrolled: 1-line block ×5, first 2 shown]
	s_waitcnt lgkmcnt(0)
	s_barrier
	buffer_gl0_inv
	scratch_load_b64 v[15:16], off, off offset:8 ; 8-byte Folded Reload
	s_mov_b32 exec_lo, s6
	s_cbranch_execz .LBB0_15
; %bb.14:
	v_lshlrev_b32_e32 v18, 4, v195
	s_mov_b32 s6, 0x14141414
	s_mov_b32 s7, 0x3f841414
	s_mul_hi_u32 s8, s0, 0x60
	s_mul_hi_u32 s10, s0, 0xc0
	global_load_b128 v[0:3], v18, s[4:5]
	ds_load_b128 v[4:7], v100
	ds_load_b128 v[8:11], v100 offset:96
	s_mul_i32 s9, s0, 0xc0
	s_waitcnt vmcnt(0) lgkmcnt(1)
	v_mul_f64 v[12:13], v[6:7], v[2:3]
	v_mul_f64 v[2:3], v[4:5], v[2:3]
	s_delay_alu instid0(VALU_DEP_2) | instskip(NEXT) | instid1(VALU_DEP_2)
	v_fma_f64 v[4:5], v[4:5], v[0:1], v[12:13]
	v_fma_f64 v[0:1], v[0:1], v[6:7], -v[2:3]
	v_mad_u64_u32 v[6:7], null, s2, v15, 0
	v_mad_u64_u32 v[12:13], null, s0, v195, 0
	s_mul_i32 s2, s1, 0x60
	s_delay_alu instid0(SALU_CYCLE_1) | instskip(SKIP_1) | instid1(SALU_CYCLE_1)
	s_add_i32 s2, s8, s2
	s_mul_i32 s8, s1, 0xc0
	s_add_i32 s8, s10, s8
	s_delay_alu instid0(VALU_DEP_4) | instskip(NEXT) | instid1(VALU_DEP_4)
	v_mul_f64 v[2:3], v[4:5], s[6:7]
	v_mul_f64 v[4:5], v[0:1], s[6:7]
	s_delay_alu instid0(VALU_DEP_3) | instskip(NEXT) | instid1(VALU_DEP_1)
	v_dual_mov_b32 v1, v13 :: v_dual_mov_b32 v0, v7
	v_mad_u64_u32 v[13:14], null, s3, v15, v[0:1]
	s_mul_i32 s3, s0, 0x60
	s_delay_alu instid0(VALU_DEP_1) | instskip(SKIP_1) | instid1(VALU_DEP_2)
	v_mov_b32_e32 v7, v13
	v_mad_u64_u32 v[14:15], null, s1, v195, v[1:2]
	v_lshlrev_b64 v[0:1], 4, v[6:7]
	s_delay_alu instid0(VALU_DEP_1) | instskip(NEXT) | instid1(VALU_DEP_3)
	v_add_co_u32 v0, vcc_lo, s12, v0
	v_mov_b32_e32 v13, v14
	s_delay_alu instid0(VALU_DEP_3) | instskip(NEXT) | instid1(VALU_DEP_2)
	v_add_co_ci_u32_e32 v1, vcc_lo, s13, v1, vcc_lo
	v_lshlrev_b64 v[6:7], 4, v[12:13]
	s_delay_alu instid0(VALU_DEP_1) | instskip(NEXT) | instid1(VALU_DEP_2)
	v_add_co_u32 v6, vcc_lo, v0, v6
	v_add_co_ci_u32_e32 v7, vcc_lo, v1, v7, vcc_lo
	s_delay_alu instid0(VALU_DEP_2)
	v_add_co_u32 v14, vcc_lo, v6, s3
	global_store_b128 v[6:7], v[2:5], off
	global_load_b128 v[2:5], v18, s[4:5] offset:96
	v_add_co_ci_u32_e32 v15, vcc_lo, s2, v7, vcc_lo
	s_waitcnt vmcnt(0) lgkmcnt(0)
	v_mul_f64 v[12:13], v[10:11], v[4:5]
	v_mul_f64 v[4:5], v[8:9], v[4:5]
	s_delay_alu instid0(VALU_DEP_2) | instskip(NEXT) | instid1(VALU_DEP_2)
	v_fma_f64 v[8:9], v[8:9], v[2:3], v[12:13]
	v_fma_f64 v[4:5], v[2:3], v[10:11], -v[4:5]
	s_delay_alu instid0(VALU_DEP_2) | instskip(NEXT) | instid1(VALU_DEP_2)
	v_mul_f64 v[2:3], v[8:9], s[6:7]
	v_mul_f64 v[4:5], v[4:5], s[6:7]
	global_store_b128 v[14:15], v[2:5], off
	global_load_b128 v[2:5], v18, s[4:5] offset:192
	ds_load_b128 v[6:9], v100 offset:192
	ds_load_b128 v[10:13], v100 offset:288
	s_waitcnt vmcnt(0) lgkmcnt(1)
	v_mul_f64 v[16:17], v[8:9], v[4:5]
	v_mul_f64 v[4:5], v[6:7], v[4:5]
	s_delay_alu instid0(VALU_DEP_2) | instskip(NEXT) | instid1(VALU_DEP_2)
	v_fma_f64 v[6:7], v[6:7], v[2:3], v[16:17]
	v_fma_f64 v[4:5], v[2:3], v[8:9], -v[4:5]
	s_delay_alu instid0(VALU_DEP_2) | instskip(NEXT) | instid1(VALU_DEP_2)
	v_mul_f64 v[2:3], v[6:7], s[6:7]
	v_mul_f64 v[4:5], v[4:5], s[6:7]
	v_add_co_u32 v6, vcc_lo, v14, s3
	v_add_co_ci_u32_e32 v7, vcc_lo, s2, v15, vcc_lo
	s_delay_alu instid0(VALU_DEP_2) | instskip(NEXT) | instid1(VALU_DEP_2)
	v_add_co_u32 v14, vcc_lo, v6, s3
	v_add_co_ci_u32_e32 v15, vcc_lo, s2, v7, vcc_lo
	global_store_b128 v[6:7], v[2:5], off
	global_load_b128 v[2:5], v18, s[4:5] offset:288
	s_waitcnt vmcnt(0) lgkmcnt(0)
	v_mul_f64 v[8:9], v[12:13], v[4:5]
	v_mul_f64 v[4:5], v[10:11], v[4:5]
	s_delay_alu instid0(VALU_DEP_2) | instskip(NEXT) | instid1(VALU_DEP_2)
	v_fma_f64 v[8:9], v[10:11], v[2:3], v[8:9]
	v_fma_f64 v[4:5], v[2:3], v[12:13], -v[4:5]
	s_delay_alu instid0(VALU_DEP_2) | instskip(NEXT) | instid1(VALU_DEP_2)
	v_mul_f64 v[2:3], v[8:9], s[6:7]
	v_mul_f64 v[4:5], v[4:5], s[6:7]
	global_store_b128 v[14:15], v[2:5], off
	global_load_b128 v[2:5], v18, s[4:5] offset:384
	ds_load_b128 v[6:9], v100 offset:384
	ds_load_b128 v[10:13], v100 offset:480
	scratch_load_b32 v19, off, off offset:24 ; 4-byte Folded Reload
	s_waitcnt vmcnt(1) lgkmcnt(1)
	v_mul_f64 v[16:17], v[8:9], v[4:5]
	v_mul_f64 v[4:5], v[6:7], v[4:5]
	s_delay_alu instid0(VALU_DEP_2) | instskip(NEXT) | instid1(VALU_DEP_2)
	v_fma_f64 v[6:7], v[6:7], v[2:3], v[16:17]
	v_fma_f64 v[4:5], v[2:3], v[8:9], -v[4:5]
	s_waitcnt vmcnt(0)
	v_mad_u64_u32 v[8:9], null, s0, v19, 0
	s_delay_alu instid0(VALU_DEP_3) | instskip(NEXT) | instid1(VALU_DEP_2)
	v_mul_f64 v[2:3], v[6:7], s[6:7]
	v_mov_b32_e32 v6, v9
	s_delay_alu instid0(VALU_DEP_4) | instskip(NEXT) | instid1(VALU_DEP_2)
	v_mul_f64 v[4:5], v[4:5], s[6:7]
	v_mad_u64_u32 v[16:17], null, s1, v19, v[6:7]
	s_delay_alu instid0(VALU_DEP_1) | instskip(NEXT) | instid1(VALU_DEP_1)
	v_mov_b32_e32 v9, v16
	v_lshlrev_b64 v[6:7], 4, v[8:9]
	s_delay_alu instid0(VALU_DEP_1) | instskip(NEXT) | instid1(VALU_DEP_2)
	v_add_co_u32 v6, vcc_lo, v0, v6
	v_add_co_ci_u32_e32 v7, vcc_lo, v1, v7, vcc_lo
	v_add_co_u32 v14, vcc_lo, v14, s9
	v_add_co_ci_u32_e32 v15, vcc_lo, s8, v15, vcc_lo
	global_store_b128 v[6:7], v[2:5], off
	global_load_b128 v[2:5], v18, s[4:5] offset:480
	s_waitcnt vmcnt(0) lgkmcnt(0)
	v_mul_f64 v[6:7], v[12:13], v[4:5]
	v_mul_f64 v[4:5], v[10:11], v[4:5]
	s_delay_alu instid0(VALU_DEP_2) | instskip(NEXT) | instid1(VALU_DEP_2)
	v_fma_f64 v[6:7], v[10:11], v[2:3], v[6:7]
	v_fma_f64 v[4:5], v[2:3], v[12:13], -v[4:5]
	s_delay_alu instid0(VALU_DEP_2) | instskip(NEXT) | instid1(VALU_DEP_2)
	v_mul_f64 v[2:3], v[6:7], s[6:7]
	v_mul_f64 v[4:5], v[4:5], s[6:7]
	global_store_b128 v[14:15], v[2:5], off
	global_load_b128 v[2:5], v18, s[4:5] offset:576
	ds_load_b128 v[6:9], v100 offset:576
	ds_load_b128 v[10:13], v100 offset:672
	s_waitcnt vmcnt(0) lgkmcnt(1)
	v_mul_f64 v[16:17], v[8:9], v[4:5]
	v_mul_f64 v[4:5], v[6:7], v[4:5]
	s_delay_alu instid0(VALU_DEP_2) | instskip(NEXT) | instid1(VALU_DEP_2)
	v_fma_f64 v[6:7], v[6:7], v[2:3], v[16:17]
	v_fma_f64 v[4:5], v[2:3], v[8:9], -v[4:5]
	s_delay_alu instid0(VALU_DEP_2) | instskip(NEXT) | instid1(VALU_DEP_2)
	v_mul_f64 v[2:3], v[6:7], s[6:7]
	v_mul_f64 v[4:5], v[4:5], s[6:7]
	v_add_co_u32 v6, vcc_lo, v14, s3
	v_add_co_ci_u32_e32 v7, vcc_lo, s2, v15, vcc_lo
	s_delay_alu instid0(VALU_DEP_2) | instskip(NEXT) | instid1(VALU_DEP_2)
	v_add_co_u32 v14, vcc_lo, v6, s3
	v_add_co_ci_u32_e32 v15, vcc_lo, s2, v7, vcc_lo
	global_store_b128 v[6:7], v[2:5], off
	global_load_b128 v[2:5], v18, s[4:5] offset:672
	s_waitcnt vmcnt(0) lgkmcnt(0)
	v_mul_f64 v[8:9], v[12:13], v[4:5]
	v_mul_f64 v[4:5], v[10:11], v[4:5]
	s_delay_alu instid0(VALU_DEP_2) | instskip(NEXT) | instid1(VALU_DEP_2)
	v_fma_f64 v[8:9], v[10:11], v[2:3], v[8:9]
	v_fma_f64 v[4:5], v[2:3], v[12:13], -v[4:5]
	s_delay_alu instid0(VALU_DEP_2) | instskip(NEXT) | instid1(VALU_DEP_2)
	v_mul_f64 v[2:3], v[8:9], s[6:7]
	v_mul_f64 v[4:5], v[4:5], s[6:7]
	global_store_b128 v[14:15], v[2:5], off
	global_load_b128 v[2:5], v18, s[4:5] offset:768
	ds_load_b128 v[6:9], v100 offset:768
	ds_load_b128 v[10:13], v100 offset:864
	scratch_load_b32 v19, off, off offset:20 ; 4-byte Folded Reload
	s_waitcnt vmcnt(1) lgkmcnt(1)
	v_mul_f64 v[16:17], v[8:9], v[4:5]
	v_mul_f64 v[4:5], v[6:7], v[4:5]
	s_delay_alu instid0(VALU_DEP_2) | instskip(NEXT) | instid1(VALU_DEP_2)
	v_fma_f64 v[6:7], v[6:7], v[2:3], v[16:17]
	v_fma_f64 v[4:5], v[2:3], v[8:9], -v[4:5]
	s_waitcnt vmcnt(0)
	v_mad_u64_u32 v[8:9], null, s0, v19, 0
	s_delay_alu instid0(VALU_DEP_3) | instskip(NEXT) | instid1(VALU_DEP_3)
	v_mul_f64 v[2:3], v[6:7], s[6:7]
	v_mul_f64 v[4:5], v[4:5], s[6:7]
	s_delay_alu instid0(VALU_DEP_3) | instskip(NEXT) | instid1(VALU_DEP_1)
	v_mov_b32_e32 v6, v9
	v_mad_u64_u32 v[16:17], null, s1, v19, v[6:7]
	s_delay_alu instid0(VALU_DEP_1) | instskip(NEXT) | instid1(VALU_DEP_1)
	v_mov_b32_e32 v9, v16
	v_lshlrev_b64 v[6:7], 4, v[8:9]
	s_delay_alu instid0(VALU_DEP_1) | instskip(NEXT) | instid1(VALU_DEP_2)
	v_add_co_u32 v6, vcc_lo, v0, v6
	v_add_co_ci_u32_e32 v7, vcc_lo, v1, v7, vcc_lo
	v_add_co_u32 v14, vcc_lo, v14, s9
	v_add_co_ci_u32_e32 v15, vcc_lo, s8, v15, vcc_lo
	global_store_b128 v[6:7], v[2:5], off
	global_load_b128 v[2:5], v18, s[4:5] offset:864
	s_waitcnt vmcnt(0) lgkmcnt(0)
	v_mul_f64 v[6:7], v[12:13], v[4:5]
	v_mul_f64 v[4:5], v[10:11], v[4:5]
	s_delay_alu instid0(VALU_DEP_2) | instskip(NEXT) | instid1(VALU_DEP_2)
	v_fma_f64 v[6:7], v[10:11], v[2:3], v[6:7]
	v_fma_f64 v[4:5], v[2:3], v[12:13], -v[4:5]
	s_delay_alu instid0(VALU_DEP_2) | instskip(NEXT) | instid1(VALU_DEP_2)
	v_mul_f64 v[2:3], v[6:7], s[6:7]
	v_mul_f64 v[4:5], v[4:5], s[6:7]
	global_store_b128 v[14:15], v[2:5], off
	global_load_b128 v[2:5], v18, s[4:5] offset:960
	ds_load_b128 v[6:9], v100 offset:960
	ds_load_b128 v[10:13], v100 offset:1056
	s_waitcnt vmcnt(0) lgkmcnt(1)
	v_mul_f64 v[16:17], v[8:9], v[4:5]
	v_mul_f64 v[4:5], v[6:7], v[4:5]
	s_delay_alu instid0(VALU_DEP_2) | instskip(NEXT) | instid1(VALU_DEP_2)
	v_fma_f64 v[6:7], v[6:7], v[2:3], v[16:17]
	v_fma_f64 v[4:5], v[2:3], v[8:9], -v[4:5]
	s_delay_alu instid0(VALU_DEP_2) | instskip(NEXT) | instid1(VALU_DEP_2)
	v_mul_f64 v[2:3], v[6:7], s[6:7]
	v_mul_f64 v[4:5], v[4:5], s[6:7]
	v_add_co_u32 v6, vcc_lo, v14, s3
	v_add_co_ci_u32_e32 v7, vcc_lo, s2, v15, vcc_lo
	s_delay_alu instid0(VALU_DEP_2) | instskip(NEXT) | instid1(VALU_DEP_2)
	v_add_co_u32 v14, vcc_lo, v6, s3
	v_add_co_ci_u32_e32 v15, vcc_lo, s2, v7, vcc_lo
	global_store_b128 v[6:7], v[2:5], off
	global_load_b128 v[2:5], v18, s[4:5] offset:1056
	s_waitcnt vmcnt(0) lgkmcnt(0)
	v_mul_f64 v[8:9], v[12:13], v[4:5]
	v_mul_f64 v[4:5], v[10:11], v[4:5]
	s_delay_alu instid0(VALU_DEP_2) | instskip(NEXT) | instid1(VALU_DEP_2)
	v_fma_f64 v[8:9], v[10:11], v[2:3], v[8:9]
	v_fma_f64 v[4:5], v[2:3], v[12:13], -v[4:5]
	s_delay_alu instid0(VALU_DEP_2) | instskip(NEXT) | instid1(VALU_DEP_2)
	v_mul_f64 v[2:3], v[8:9], s[6:7]
	v_mul_f64 v[4:5], v[4:5], s[6:7]
	global_store_b128 v[14:15], v[2:5], off
	global_load_b128 v[2:5], v18, s[4:5] offset:1152
	ds_load_b128 v[6:9], v100 offset:1152
	ds_load_b128 v[10:13], v100 offset:1248
	scratch_load_b32 v19, off, off offset:16 ; 4-byte Folded Reload
	s_waitcnt vmcnt(1) lgkmcnt(1)
	v_mul_f64 v[16:17], v[8:9], v[4:5]
	v_mul_f64 v[4:5], v[6:7], v[4:5]
	s_delay_alu instid0(VALU_DEP_2) | instskip(NEXT) | instid1(VALU_DEP_2)
	v_fma_f64 v[6:7], v[6:7], v[2:3], v[16:17]
	v_fma_f64 v[4:5], v[2:3], v[8:9], -v[4:5]
	s_waitcnt vmcnt(0)
	v_mad_u64_u32 v[8:9], null, s0, v19, 0
	s_delay_alu instid0(VALU_DEP_3) | instskip(NEXT) | instid1(VALU_DEP_3)
	v_mul_f64 v[2:3], v[6:7], s[6:7]
	v_mul_f64 v[4:5], v[4:5], s[6:7]
	s_delay_alu instid0(VALU_DEP_3) | instskip(NEXT) | instid1(VALU_DEP_1)
	v_mov_b32_e32 v6, v9
	v_mad_u64_u32 v[16:17], null, s1, v19, v[6:7]
	s_delay_alu instid0(VALU_DEP_1) | instskip(NEXT) | instid1(VALU_DEP_1)
	v_mov_b32_e32 v9, v16
	v_lshlrev_b64 v[6:7], 4, v[8:9]
	s_delay_alu instid0(VALU_DEP_1) | instskip(NEXT) | instid1(VALU_DEP_2)
	v_add_co_u32 v6, vcc_lo, v0, v6
	v_add_co_ci_u32_e32 v7, vcc_lo, v1, v7, vcc_lo
	v_add_co_u32 v14, vcc_lo, v14, s9
	v_add_co_ci_u32_e32 v15, vcc_lo, s8, v15, vcc_lo
	global_store_b128 v[6:7], v[2:5], off
	global_load_b128 v[2:5], v18, s[4:5] offset:1248
	s_waitcnt vmcnt(0) lgkmcnt(0)
	v_mul_f64 v[6:7], v[12:13], v[4:5]
	v_mul_f64 v[4:5], v[10:11], v[4:5]
	s_delay_alu instid0(VALU_DEP_2) | instskip(NEXT) | instid1(VALU_DEP_2)
	v_fma_f64 v[6:7], v[10:11], v[2:3], v[6:7]
	v_fma_f64 v[4:5], v[2:3], v[12:13], -v[4:5]
	s_delay_alu instid0(VALU_DEP_2) | instskip(NEXT) | instid1(VALU_DEP_2)
	v_mul_f64 v[2:3], v[6:7], s[6:7]
	v_mul_f64 v[4:5], v[4:5], s[6:7]
	global_store_b128 v[14:15], v[2:5], off
	global_load_b128 v[2:5], v18, s[4:5] offset:1344
	ds_load_b128 v[6:9], v100 offset:1344
	ds_load_b128 v[10:13], v100 offset:1440
	s_waitcnt vmcnt(0) lgkmcnt(1)
	v_mul_f64 v[16:17], v[8:9], v[4:5]
	v_mul_f64 v[4:5], v[6:7], v[4:5]
	s_delay_alu instid0(VALU_DEP_2) | instskip(NEXT) | instid1(VALU_DEP_2)
	v_fma_f64 v[6:7], v[6:7], v[2:3], v[16:17]
	v_fma_f64 v[4:5], v[2:3], v[8:9], -v[4:5]
	s_delay_alu instid0(VALU_DEP_2) | instskip(NEXT) | instid1(VALU_DEP_2)
	v_mul_f64 v[2:3], v[6:7], s[6:7]
	v_mul_f64 v[4:5], v[4:5], s[6:7]
	v_add_co_u32 v6, vcc_lo, v14, s3
	v_add_co_ci_u32_e32 v7, vcc_lo, s2, v15, vcc_lo
	global_store_b128 v[6:7], v[2:5], off
	global_load_b128 v[2:5], v18, s[4:5] offset:1440
	v_add_co_u32 v6, vcc_lo, v6, s3
	v_add_co_ci_u32_e32 v7, vcc_lo, s2, v7, vcc_lo
	s_waitcnt vmcnt(0) lgkmcnt(0)
	v_mul_f64 v[8:9], v[12:13], v[4:5]
	v_mul_f64 v[4:5], v[10:11], v[4:5]
	s_delay_alu instid0(VALU_DEP_2) | instskip(NEXT) | instid1(VALU_DEP_2)
	v_fma_f64 v[8:9], v[10:11], v[2:3], v[8:9]
	v_fma_f64 v[4:5], v[2:3], v[12:13], -v[4:5]
	s_delay_alu instid0(VALU_DEP_2) | instskip(NEXT) | instid1(VALU_DEP_2)
	v_mul_f64 v[2:3], v[8:9], s[6:7]
	v_mul_f64 v[4:5], v[4:5], s[6:7]
	global_store_b128 v[6:7], v[2:5], off
	global_load_b128 v[2:5], v18, s[4:5] offset:1536
	ds_load_b128 v[6:9], v100 offset:1536
	s_waitcnt vmcnt(0) lgkmcnt(0)
	v_mul_f64 v[10:11], v[8:9], v[4:5]
	v_mul_f64 v[4:5], v[6:7], v[4:5]
	s_delay_alu instid0(VALU_DEP_2) | instskip(NEXT) | instid1(VALU_DEP_2)
	v_fma_f64 v[6:7], v[6:7], v[2:3], v[10:11]
	v_fma_f64 v[4:5], v[2:3], v[8:9], -v[4:5]
	v_mad_u64_u32 v[8:9], null, s0, v255, 0
	s_delay_alu instid0(VALU_DEP_3) | instskip(NEXT) | instid1(VALU_DEP_3)
	v_mul_f64 v[2:3], v[6:7], s[6:7]
	v_mul_f64 v[4:5], v[4:5], s[6:7]
	s_delay_alu instid0(VALU_DEP_3) | instskip(NEXT) | instid1(VALU_DEP_1)
	v_mov_b32_e32 v6, v9
	v_mad_u64_u32 v[9:10], null, s1, v255, v[6:7]
	s_delay_alu instid0(VALU_DEP_1) | instskip(NEXT) | instid1(VALU_DEP_1)
	v_lshlrev_b64 v[6:7], 4, v[8:9]
	v_add_co_u32 v0, vcc_lo, v0, v6
	s_delay_alu instid0(VALU_DEP_2)
	v_add_co_ci_u32_e32 v1, vcc_lo, v1, v7, vcc_lo
	global_store_b128 v[0:1], v[2:5], off
.LBB0_15:
	s_nop 0
	s_sendmsg sendmsg(MSG_DEALLOC_VGPRS)
	s_endpgm
	.section	.rodata,"a",@progbits
	.p2align	6, 0x0
	.amdhsa_kernel bluestein_single_back_len102_dim1_dp_op_CI_CI
		.amdhsa_group_segment_fixed_size 11424
		.amdhsa_private_segment_fixed_size 472
		.amdhsa_kernarg_size 104
		.amdhsa_user_sgpr_count 15
		.amdhsa_user_sgpr_dispatch_ptr 0
		.amdhsa_user_sgpr_queue_ptr 0
		.amdhsa_user_sgpr_kernarg_segment_ptr 1
		.amdhsa_user_sgpr_dispatch_id 0
		.amdhsa_user_sgpr_private_segment_size 0
		.amdhsa_wavefront_size32 1
		.amdhsa_uses_dynamic_stack 0
		.amdhsa_enable_private_segment 1
		.amdhsa_system_sgpr_workgroup_id_x 1
		.amdhsa_system_sgpr_workgroup_id_y 0
		.amdhsa_system_sgpr_workgroup_id_z 0
		.amdhsa_system_sgpr_workgroup_info 0
		.amdhsa_system_vgpr_workitem_id 0
		.amdhsa_next_free_vgpr 256
		.amdhsa_next_free_sgpr 54
		.amdhsa_reserve_vcc 1
		.amdhsa_float_round_mode_32 0
		.amdhsa_float_round_mode_16_64 0
		.amdhsa_float_denorm_mode_32 3
		.amdhsa_float_denorm_mode_16_64 3
		.amdhsa_dx10_clamp 1
		.amdhsa_ieee_mode 1
		.amdhsa_fp16_overflow 0
		.amdhsa_workgroup_processor_mode 1
		.amdhsa_memory_ordered 1
		.amdhsa_forward_progress 0
		.amdhsa_shared_vgpr_count 0
		.amdhsa_exception_fp_ieee_invalid_op 0
		.amdhsa_exception_fp_denorm_src 0
		.amdhsa_exception_fp_ieee_div_zero 0
		.amdhsa_exception_fp_ieee_overflow 0
		.amdhsa_exception_fp_ieee_underflow 0
		.amdhsa_exception_fp_ieee_inexact 0
		.amdhsa_exception_int_div_zero 0
	.end_amdhsa_kernel
	.text
.Lfunc_end0:
	.size	bluestein_single_back_len102_dim1_dp_op_CI_CI, .Lfunc_end0-bluestein_single_back_len102_dim1_dp_op_CI_CI
                                        ; -- End function
	.section	.AMDGPU.csdata,"",@progbits
; Kernel info:
; codeLenInByte = 22364
; NumSgprs: 56
; NumVgprs: 256
; ScratchSize: 472
; MemoryBound: 0
; FloatMode: 240
; IeeeMode: 1
; LDSByteSize: 11424 bytes/workgroup (compile time only)
; SGPRBlocks: 6
; VGPRBlocks: 31
; NumSGPRsForWavesPerEU: 56
; NumVGPRsForWavesPerEU: 256
; Occupancy: 5
; WaveLimiterHint : 1
; COMPUTE_PGM_RSRC2:SCRATCH_EN: 1
; COMPUTE_PGM_RSRC2:USER_SGPR: 15
; COMPUTE_PGM_RSRC2:TRAP_HANDLER: 0
; COMPUTE_PGM_RSRC2:TGID_X_EN: 1
; COMPUTE_PGM_RSRC2:TGID_Y_EN: 0
; COMPUTE_PGM_RSRC2:TGID_Z_EN: 0
; COMPUTE_PGM_RSRC2:TIDIG_COMP_CNT: 0
	.text
	.p2alignl 7, 3214868480
	.fill 96, 4, 3214868480
	.type	__hip_cuid_682f3f30f9002992,@object ; @__hip_cuid_682f3f30f9002992
	.section	.bss,"aw",@nobits
	.globl	__hip_cuid_682f3f30f9002992
__hip_cuid_682f3f30f9002992:
	.byte	0                               ; 0x0
	.size	__hip_cuid_682f3f30f9002992, 1

	.ident	"AMD clang version 19.0.0git (https://github.com/RadeonOpenCompute/llvm-project roc-6.4.0 25133 c7fe45cf4b819c5991fe208aaa96edf142730f1d)"
	.section	".note.GNU-stack","",@progbits
	.addrsig
	.addrsig_sym __hip_cuid_682f3f30f9002992
	.amdgpu_metadata
---
amdhsa.kernels:
  - .args:
      - .actual_access:  read_only
        .address_space:  global
        .offset:         0
        .size:           8
        .value_kind:     global_buffer
      - .actual_access:  read_only
        .address_space:  global
        .offset:         8
        .size:           8
        .value_kind:     global_buffer
      - .actual_access:  read_only
        .address_space:  global
        .offset:         16
        .size:           8
        .value_kind:     global_buffer
      - .actual_access:  read_only
        .address_space:  global
        .offset:         24
        .size:           8
        .value_kind:     global_buffer
      - .actual_access:  read_only
        .address_space:  global
        .offset:         32
        .size:           8
        .value_kind:     global_buffer
      - .offset:         40
        .size:           8
        .value_kind:     by_value
      - .address_space:  global
        .offset:         48
        .size:           8
        .value_kind:     global_buffer
      - .address_space:  global
        .offset:         56
        .size:           8
        .value_kind:     global_buffer
      - .address_space:  global
        .offset:         64
        .size:           8
        .value_kind:     global_buffer
      - .address_space:  global
        .offset:         72
        .size:           8
        .value_kind:     global_buffer
      - .offset:         80
        .size:           4
        .value_kind:     by_value
      - .address_space:  global
        .offset:         88
        .size:           8
        .value_kind:     global_buffer
      - .address_space:  global
        .offset:         96
        .size:           8
        .value_kind:     global_buffer
    .group_segment_fixed_size: 11424
    .kernarg_segment_align: 8
    .kernarg_segment_size: 104
    .language:       OpenCL C
    .language_version:
      - 2
      - 0
    .max_flat_workgroup_size: 119
    .name:           bluestein_single_back_len102_dim1_dp_op_CI_CI
    .private_segment_fixed_size: 472
    .sgpr_count:     56
    .sgpr_spill_count: 0
    .symbol:         bluestein_single_back_len102_dim1_dp_op_CI_CI.kd
    .uniform_work_group_size: 1
    .uses_dynamic_stack: false
    .vgpr_count:     256
    .vgpr_spill_count: 147
    .wavefront_size: 32
    .workgroup_processor_mode: 1
amdhsa.target:   amdgcn-amd-amdhsa--gfx1100
amdhsa.version:
  - 1
  - 2
...

	.end_amdgpu_metadata
